;; amdgpu-corpus repo=ROCm/rocFFT kind=compiled arch=gfx1100 opt=O3
	.text
	.amdgcn_target "amdgcn-amd-amdhsa--gfx1100"
	.amdhsa_code_object_version 6
	.protected	bluestein_single_back_len2880_dim1_half_op_CI_CI ; -- Begin function bluestein_single_back_len2880_dim1_half_op_CI_CI
	.globl	bluestein_single_back_len2880_dim1_half_op_CI_CI
	.p2align	8
	.type	bluestein_single_back_len2880_dim1_half_op_CI_CI,@function
bluestein_single_back_len2880_dim1_half_op_CI_CI: ; @bluestein_single_back_len2880_dim1_half_op_CI_CI
; %bb.0:
	s_load_b128 s[16:19], s[0:1], 0x28
	v_mul_u32_u24_e32 v1, 0x2ab, v0
	s_mov_b32 s2, exec_lo
	v_mov_b32_e32 v3, 0
	s_delay_alu instid0(VALU_DEP_2) | instskip(NEXT) | instid1(VALU_DEP_1)
	v_lshrrev_b32_e32 v1, 16, v1
	v_add_nc_u32_e32 v2, s15, v1
	s_waitcnt lgkmcnt(0)
	s_delay_alu instid0(VALU_DEP_1)
	v_cmpx_gt_u64_e64 s[16:17], v[2:3]
	s_cbranch_execz .LBB0_2
; %bb.1:
	s_clause 0x1
	s_load_b128 s[8:11], s[0:1], 0x18
	s_load_b128 s[4:7], s[0:1], 0x0
	v_mul_lo_u16 v1, 0x60, v1
	v_mov_b32_e32 v6, v2
	s_load_b64 s[0:1], s[0:1], 0x38
	s_delay_alu instid0(VALU_DEP_2)
	v_sub_nc_u16 v46, v0, v1
	scratch_store_b64 off, v[6:7], off offset:216 ; 8-byte Folded Spill
	v_and_b32_e32 v120, 0xffff, v46
	s_waitcnt lgkmcnt(0)
	s_load_b128 s[12:15], s[8:9], 0x0
	s_add_u32 s2, s4, 0x2d00
	s_waitcnt lgkmcnt(0)
	v_mad_u64_u32 v[0:1], null, s14, v2, 0
	v_mad_u64_u32 v[2:3], null, s12, v120, 0
	s_mul_i32 s9, s13, 0x480
	s_mul_i32 s8, s12, 0x480
	;; [unrolled: 1-line block ×3, first 2 shown]
	s_mul_hi_u32 s17, s12, 0x900
	s_mul_i32 s14, s12, 0x900
	s_delay_alu instid0(VALU_DEP_1) | instskip(SKIP_1) | instid1(VALU_DEP_1)
	v_mad_u64_u32 v[4:5], null, s15, v6, v[1:2]
	s_mul_hi_u32 s15, s12, 0x480
	v_mov_b32_e32 v1, v4
	v_mad_u64_u32 v[5:6], null, s13, v120, v[3:4]
	v_or_b32_e32 v15, 0xa80, v120
	v_lshlrev_b32_e32 v125, 2, v120
	s_delay_alu instid0(VALU_DEP_4)
	v_lshlrev_b64 v[0:1], 2, v[0:1]
	v_or_b32_e32 v21, 0x900, v120
	v_or_b32_e32 v60, 0x180, v120
	v_dual_mov_b32 v24, v15 :: v_dual_mov_b32 v3, v5
	v_or_b32_e32 v23, 0x600, v120
	v_add_co_u32 v31, vcc_lo, s18, v0
	v_add_co_ci_u32_e32 v32, vcc_lo, s19, v1, vcc_lo
	s_delay_alu instid0(VALU_DEP_4) | instskip(SKIP_3) | instid1(VALU_DEP_4)
	v_lshlrev_b64 v[2:3], 2, v[2:3]
	v_mad_u64_u32 v[6:7], null, s12, v21, 0
	v_mad_u64_u32 v[8:9], null, s12, v60, 0
	;; [unrolled: 1-line block ×3, first 2 shown]
	v_add_co_u32 v2, vcc_lo, v31, v2
	v_add_co_ci_u32_e32 v3, vcc_lo, v32, v3, vcc_lo
	global_load_b32 v37, v125, s[4:5]
	global_load_b32 v14, v[2:3], off
	v_mad_u64_u32 v[12:13], null, s12, v15, 0
	v_or_b32_e32 v19, 0x780, v120
	v_or_b32_e32 v139, 0x480, v120
	v_dual_mov_b32 v34, v21 :: v_dual_mov_b32 v39, v23
	v_or_b32_e32 v133, 0x300, v120
	s_delay_alu instid0(VALU_DEP_4)
	v_mad_u64_u32 v[17:18], null, s12, v19, 0
	v_mov_b32_e32 v26, v19
	v_mad_u64_u32 v[19:20], null, s13, v21, v[7:8]
	v_mad_u64_u32 v[20:21], null, s13, v60, v[9:10]
	;; [unrolled: 1-line block ×5, first 2 shown]
	s_delay_alu instid0(VALU_DEP_4)
	v_mov_b32_e32 v9, v20
	v_mov_b32_e32 v7, v19
	v_mov_b32_e32 v11, v21
	v_mov_b32_e32 v35, v24
	v_dual_mov_b32 v19, v23 :: v_dual_lshlrev_b32 v44, 2, v139
	v_add_co_u32 v0, s3, s4, v125
	v_mov_b32_e32 v33, v26
	v_add_co_ci_u32_e64 v1, null, s5, 0, s3
	s_delay_alu instid0(VALU_DEP_3) | instskip(SKIP_1) | instid1(VALU_DEP_3)
	v_add_co_u32 v4, vcc_lo, 0x1000, v0
	v_lshlrev_b64 v[8:9], 2, v[8:9]
	v_add_co_ci_u32_e32 v5, vcc_lo, 0, v1, vcc_lo
	v_add_co_u32 v0, vcc_lo, 0x2000, v0
	v_add_co_ci_u32_e32 v1, vcc_lo, 0, v1, vcc_lo
	s_addc_u32 s3, s5, 0
	s_add_i32 s9, s15, s9
	s_add_i32 s15, s17, s16
	s_clause 0x3
	scratch_store_b32 off, v34, off offset:180
	scratch_store_b32 off, v39, off offset:120
	;; [unrolled: 1-line block ×3, first 2 shown]
	scratch_store_b32 off, v33, off
	s_mul_i32 s16, s13, 0xffffd900
	v_lshlrev_b32_e32 v43, 2, v34
	s_sub_i32 s16, s16, s12
	v_add_nc_u32_e32 v119, 0x1c00, v125
	v_add_nc_u32_e32 v107, 0x400, v125
	;; [unrolled: 1-line block ×13, first 2 shown]
	s_waitcnt vmcnt(0)
	v_mad_u64_u32 v[20:21], null, s13, v24, v[13:14]
	v_mad_u64_u32 v[23:24], null, s13, v133, v[16:17]
	;; [unrolled: 1-line block ×3, first 2 shown]
	s_delay_alu instid0(VALU_DEP_3) | instskip(NEXT) | instid1(VALU_DEP_3)
	v_mad_u64_u32 v[25:26], null, s13, v139, v[19:20]
	v_mov_b32_e32 v16, v23
	v_lshlrev_b64 v[10:11], 2, v[10:11]
	s_delay_alu instid0(VALU_DEP_4)
	v_mov_b32_e32 v18, v24
	v_lshlrev_b64 v[6:7], 2, v[6:7]
	v_mov_b32_e32 v13, v20
	v_lshlrev_b64 v[15:16], 2, v[15:16]
	;; [unrolled: 2-line block ×3, first 2 shown]
	s_mulk_i32 s13, 0xdd80
	v_add_co_u32 v21, vcc_lo, v31, v6
	s_delay_alu instid0(VALU_DEP_3)
	v_lshlrev_b64 v[19:20], 2, v[22:23]
	v_add_co_ci_u32_e32 v22, vcc_lo, v32, v7, vcc_lo
	v_add_co_u32 v8, vcc_lo, v31, v8
	v_add_co_ci_u32_e32 v9, vcc_lo, v32, v9, vcc_lo
	v_lshlrev_b64 v[12:13], 2, v[12:13]
	v_add_co_u32 v6, vcc_lo, v31, v10
	v_add_co_ci_u32_e32 v7, vcc_lo, v32, v11, vcc_lo
	v_add_co_u32 v23, vcc_lo, v2, s8
	v_add_co_ci_u32_e32 v24, vcc_lo, s9, v3, vcc_lo
	v_add_co_u32 v2, vcc_lo, v31, v12
	v_add_co_ci_u32_e32 v3, vcc_lo, v32, v13, vcc_lo
	s_delay_alu instid0(VALU_DEP_4) | instskip(NEXT) | instid1(VALU_DEP_4)
	v_add_co_u32 v25, vcc_lo, v23, s8
	v_add_co_ci_u32_e32 v26, vcc_lo, s9, v24, vcc_lo
	v_add_co_u32 v12, vcc_lo, v31, v15
	v_add_co_ci_u32_e32 v13, vcc_lo, v32, v16, vcc_lo
	s_delay_alu instid0(VALU_DEP_4) | instskip(NEXT) | instid1(VALU_DEP_4)
	v_add_co_u32 v27, vcc_lo, v25, s8
	v_add_co_ci_u32_e32 v28, vcc_lo, s9, v26, vcc_lo
	v_add_co_u32 v10, vcc_lo, v31, v17
	v_add_co_ci_u32_e32 v11, vcc_lo, v32, v18, vcc_lo
	;; [unrolled: 5-line block ×3, first 2 shown]
	s_delay_alu instid0(VALU_DEP_4) | instskip(NEXT) | instid1(VALU_DEP_4)
	v_add_co_u32 v31, vcc_lo, v29, s8
	v_add_co_ci_u32_e32 v32, vcc_lo, s9, v30, vcc_lo
	global_load_b32 v17, v[21:22], off
	v_add_co_u32 v20, vcc_lo, v31, s8
	v_add_co_ci_u32_e32 v21, vcc_lo, s9, v32, vcc_lo
	s_clause 0x1
	global_load_b32 v16, v[23:24], off
	global_load_b32 v15, v[25:26], off
	v_add_co_u32 v22, vcc_lo, v20, s14
	v_add_co_ci_u32_e32 v23, vcc_lo, s15, v21, vcc_lo
	global_load_b32 v45, v125, s[4:5] offset:384
	s_clause 0x2
	global_load_b32 v24, v[27:28], off
	global_load_b32 v25, v[18:19], off
	;; [unrolled: 1-line block ×3, first 2 shown]
	global_load_b32 v42, v125, s[4:5] offset:2688
	global_load_b32 v27, v[31:32], off
	global_load_b32 v47, v125, s[4:5] offset:1536
	v_mad_u64_u32 v[18:19], null, 0xffffd900, s12, v[22:23]
	global_load_b32 v28, v[20:21], off
	global_load_b32 v22, v[22:23], off
	v_lshrrev_b32_e32 v29, 16, v37
	s_sub_i32 s13, s13, s12
	v_add_nc_u32_e32 v19, s16, v19
	v_add_co_u32 v20, vcc_lo, v18, s14
	global_load_b32 v18, v[18:19], off
	s_clause 0x4
	global_load_b32 v36, v125, s[4:5] offset:1920
	global_load_b32 v38, v125, s[4:5] offset:768
	global_load_b32 v30, v43, s[4:5]
	global_load_b32 v187, v125, s[4:5] offset:1152
	global_load_b32 v34, v125, s[4:5] offset:3456
	v_add_co_ci_u32_e32 v21, vcc_lo, s15, v19, vcc_lo
	v_lshrrev_b32_e32 v19, 16, v14
	v_mul_f16_e32 v23, v29, v14
	global_load_b32 v184, v44, s[4:5]
	scratch_store_b32 off, v29, off offset:248 ; 4-byte Folded Spill
	v_fma_f16 v23, v37, v19, -v23
	v_mul_f16_e32 v19, v29, v19
	s_delay_alu instid0(VALU_DEP_1)
	v_fmac_f16_e32 v19, v37, v14
	s_waitcnt vmcnt(18)
	v_lshrrev_b32_e32 v14, 16, v17
	s_waitcnt vmcnt(3)
	v_lshrrev_b32_e32 v31, 16, v30
	scratch_store_b32 off, v30, off offset:184 ; 4-byte Folded Spill
	s_waitcnt vmcnt(1)
	scratch_store_b32 off, v34, off offset:224 ; 4-byte Folded Spill
	v_lshrrev_b32_e32 v40, 16, v34
	scratch_store_b32 off, v31, off offset:188 ; 4-byte Folded Spill
	v_mul_f16_e32 v29, v31, v17
	s_delay_alu instid0(VALU_DEP_1) | instskip(SKIP_2) | instid1(VALU_DEP_2)
	v_fma_f16 v29, v30, v14, -v29
	v_mul_f16_e32 v14, v31, v14
	v_lshrrev_b32_e32 v31, 16, v187
	v_fmac_f16_e32 v14, v30, v17
	v_lshrrev_b32_e32 v17, 16, v16
	s_delay_alu instid0(VALU_DEP_3) | instskip(NEXT) | instid1(VALU_DEP_3)
	v_mul_f16_e32 v30, v31, v16
	v_pack_b32_f16 v14, v14, v29
	s_delay_alu instid0(VALU_DEP_2)
	v_fma_f16 v30, v187, v17, -v30
	v_mul_f16_e32 v17, v31, v17
	global_load_b32 v31, v125, s[4:5] offset:2304
	v_fmac_f16_e64 v17, v187, v16
	v_pack_b32_f16 v16, v19, v23
	v_lshrrev_b32_e32 v19, 16, v15
	s_delay_alu instid0(VALU_DEP_3)
	v_pack_b32_f16 v17, v17, v30
	s_waitcnt vmcnt(0)
	v_lshrrev_b32_e32 v32, 16, v31
	s_clause 0x2
	scratch_store_b32 off, v31, off offset:232
	scratch_store_b32 off, v37, off offset:244
	;; [unrolled: 1-line block ×3, first 2 shown]
	s_clause 0x2
	global_load_b32 v41, v125, s[4:5] offset:3840
	global_load_b32 v37, v125, s[4:5] offset:3072
	global_load_b32 v29, v[4:5], off offset:1664
	v_mul_f16_e32 v23, v32, v15
	scratch_store_b32 off, v40, off offset:228 ; 4-byte Folded Spill
	v_fma_f16 v23, v31, v19, -v23
	v_mul_f16_e32 v19, v32, v19
	v_lshrrev_b32_e32 v32, 16, v184
	s_delay_alu instid0(VALU_DEP_2) | instskip(SKIP_1) | instid1(VALU_DEP_3)
	v_fmac_f16_e32 v19, v31, v15
	v_lshrrev_b32_e32 v15, 16, v25
	v_mul_f16_e32 v31, v32, v25
	s_delay_alu instid0(VALU_DEP_3) | instskip(NEXT) | instid1(VALU_DEP_2)
	v_pack_b32_f16 v19, v19, v23
	v_fma_f16 v31, v184, v15, -v31
	v_mul_f16_e32 v15, v32, v15
	v_mul_f16_e32 v32, v40, v24
	s_delay_alu instid0(VALU_DEP_2) | instskip(SKIP_1) | instid1(VALU_DEP_2)
	v_fmac_f16_e64 v15, v184, v25
	v_lshrrev_b32_e32 v25, 16, v24
	v_pack_b32_f16 v15, v15, v31
	s_delay_alu instid0(VALU_DEP_2) | instskip(SKIP_1) | instid1(VALU_DEP_1)
	v_fma_f16 v32, v34, v25, -v32
	v_mul_f16_e32 v25, v40, v25
	v_fmac_f16_e32 v25, v34, v24
	v_lshrrev_b32_e32 v24, 16, v26
	s_delay_alu instid0(VALU_DEP_2)
	v_pack_b32_f16 v23, v25, v32
	s_waitcnt vmcnt(0)
	scratch_store_b32 off, v29, off offset:208 ; 4-byte Folded Spill
	v_lshrrev_b32_e32 v30, 16, v29
	s_clause 0x2
	global_load_b32 v40, v[4:5], off offset:3200
	global_load_b32 v32, v[4:5], off offset:2432
	;; [unrolled: 1-line block ×3, first 2 shown]
	v_mul_f16_e32 v25, v30, v26
	scratch_store_b32 off, v30, off offset:212 ; 4-byte Folded Spill
	ds_store_b32 v125, v17 offset:1152
	ds_store_b32 v125, v19 offset:2304
	v_lshrrev_b32_e32 v17, 16, v27
	v_fma_f16 v25, v29, v24, -v25
	v_mul_f16_e32 v24, v30, v24
	s_delay_alu instid0(VALU_DEP_1)
	v_fmac_f16_e32 v24, v29, v26
	global_load_b32 v26, v[4:5], off offset:2816
	v_pack_b32_f16 v24, v24, v25
	v_lshrrev_b32_e32 v25, 16, v28
	s_waitcnt vmcnt(0)
	v_lshrrev_b32_e32 v29, 16, v26
	s_delay_alu instid0(VALU_DEP_1) | instskip(SKIP_3) | instid1(VALU_DEP_1)
	v_mul_f16_e32 v19, v29, v27
	scratch_store_b32 off, v29, off offset:204 ; 4-byte Folded Spill
	v_fma_f16 v19, v26, v17, -v19
	v_mul_f16_e32 v17, v29, v17
	v_fmac_f16_e32 v17, v26, v27
	global_load_b32 v27, v[4:5], off offset:3968
	v_pack_b32_f16 v17, v17, v19
	s_waitcnt vmcnt(0)
	v_lshrrev_b32_e32 v29, 16, v27
	s_clause 0x1
	scratch_store_b32 off, v26, off offset:200
	scratch_store_b32 off, v29, off offset:196
	v_mul_f16_e32 v26, v29, v28
	s_delay_alu instid0(VALU_DEP_1)
	v_fma_f16 v26, v27, v25, -v26
	v_mul_f16_e32 v25, v29, v25
	global_load_b32 v29, v[0:1], off offset:2176
	scratch_store_b32 off, v27, off offset:192 ; 4-byte Folded Spill
	v_fmac_f16_e32 v25, v27, v28
	v_lshrrev_b32_e32 v27, 16, v22
	s_waitcnt vmcnt(0)
	scratch_store_b32 off, v29, off offset:156 ; 4-byte Folded Spill
	v_lshrrev_b32_e32 v48, 16, v29
	s_clause 0x1
	global_load_b32 v30, v[0:1], off offset:2944
	global_load_b32 v31, v[0:1], off offset:1792
	ds_store_b32 v125, v23 offset:3456
	v_mul_f16_e32 v28, v48, v22
	scratch_store_b32 off, v48, off offset:160 ; 4-byte Folded Spill
	v_fma_f16 v28, v29, v27, -v28
	v_mul_f16_e32 v27, v48, v27
	v_lshrrev_b32_e32 v48, 16, v45
	scratch_store_b32 off, v45, off offset:164 ; 4-byte Folded Spill
	v_fmac_f16_e32 v27, v29, v22
	scratch_store_b32 off, v48, off offset:168 ; 4-byte Folded Spill
	v_lshrrev_b32_e32 v22, 16, v18
	v_mul_f16_e32 v29, v48, v18
	v_pack_b32_f16 v19, v27, v28
	s_delay_alu instid0(VALU_DEP_2) | instskip(SKIP_1) | instid1(VALU_DEP_1)
	v_fma_f16 v29, v45, v22, -v29
	v_mul_f16_e32 v22, v48, v22
	v_fmac_f16_e32 v22, v45, v18
	v_pack_b32_f16 v18, v25, v26
	v_lshlrev_b32_e32 v45, 2, v33
	v_lshrrev_b32_e32 v25, 16, v36
	s_delay_alu instid0(VALU_DEP_4)
	v_pack_b32_f16 v22, v22, v29
	ds_store_b32 v125, v15 offset:4608
	ds_store_b32 v125, v24 offset:5760
	;; [unrolled: 1-line block ×6, first 2 shown]
	ds_store_2addr_b32 v125, v16, v22 offset1:96
	global_load_b32 v14, v[12:13], off
	v_add_co_u32 v12, vcc_lo, v20, s8
	global_load_b32 v15, v[20:21], off
	global_load_b32 v20, v45, s[4:5]
	v_lshrrev_b32_e32 v18, 16, v37
	v_lshrrev_b32_e32 v19, 16, v42
	v_add_co_ci_u32_e32 v13, vcc_lo, s9, v21, vcc_lo
	global_load_b32 v22, v[8:9], off
	s_clause 0x4
	scratch_store_b32 off, v18, off offset:64
	scratch_store_b32 off, v36, off offset:68
	;; [unrolled: 1-line block ×5, first 2 shown]
	v_lshrrev_b32_e32 v24, 16, v47
	s_clause 0x1
	scratch_store_b32 off, v47, off offset:172
	scratch_store_b32 off, v24, off offset:176
	s_waitcnt vmcnt(3)
	v_lshrrev_b32_e32 v16, 16, v14
	v_mul_f16_e32 v17, v18, v14
	s_waitcnt vmcnt(1)
	v_lshrrev_b32_e32 v21, 16, v20
	scratch_store_b32 off, v20, off offset:28 ; 4-byte Folded Spill
	v_fma_f16 v17, v37, v16, -v17
	v_mul_f16_e32 v16, v18, v16
	scratch_store_b32 off, v37, off offset:60 ; 4-byte Folded Spill
	v_mul_f16_e32 v18, v19, v15
	scratch_store_b32 off, v21, off offset:32 ; 4-byte Folded Spill
	s_waitcnt vmcnt(0)
	v_mul_f16_e32 v23, v24, v22
	v_fmac_f16_e32 v16, v37, v14
	v_lshrrev_b32_e32 v14, 16, v15
	s_delay_alu instid0(VALU_DEP_1) | instskip(SKIP_1) | instid1(VALU_DEP_1)
	v_fma_f16 v18, v42, v14, -v18
	v_mul_f16_e32 v14, v19, v14
	v_fmac_f16_e32 v14, v42, v15
	v_pack_b32_f16 v15, v16, v17
	v_add_nc_u32_e32 v16, 0xa00, v125
	v_lshlrev_b32_e32 v48, 2, v35
	s_delay_alu instid0(VALU_DEP_4)
	v_pack_b32_f16 v14, v14, v18
	global_load_b32 v18, v[10:11], off
	v_add_co_u32 v10, vcc_lo, v12, s8
	v_add_co_ci_u32_e32 v11, vcc_lo, s9, v13, vcc_lo
	ds_store_2addr_b32 v16, v14, v15 offset0:32 offset1:128
	v_add_co_u32 v14, vcc_lo, v10, s14
	v_add_co_ci_u32_e32 v15, vcc_lo, s15, v11, vcc_lo
	v_mov_b32_e32 v150, v16
	s_delay_alu instid0(VALU_DEP_3) | instskip(SKIP_4) | instid1(VALU_DEP_3)
	v_add_co_u32 v16, vcc_lo, v14, s8
	global_load_b32 v14, v[14:15], off
	v_add_co_ci_u32_e32 v17, vcc_lo, s9, v15, vcc_lo
	v_add_co_u32 v8, vcc_lo, v16, s8
	v_add_nc_u32_e32 v118, 0x2400, v125
	v_add_co_ci_u32_e32 v9, vcc_lo, s9, v17, vcc_lo
	s_waitcnt vmcnt(1)
	v_lshrrev_b32_e32 v15, 16, v18
	v_mul_f16_e32 v19, v21, v18
	s_delay_alu instid0(VALU_DEP_1)
	v_fma_f16 v19, v20, v15, -v19
	v_mul_f16_e32 v15, v21, v15
	v_lshrrev_b32_e32 v21, 16, v40
	scratch_store_b32 off, v40, off offset:96 ; 4-byte Folded Spill
	v_fmac_f16_e32 v15, v20, v18
	scratch_store_b32 off, v21, off offset:100 ; 4-byte Folded Spill
	s_waitcnt vmcnt(0)
	v_lshrrev_b32_e32 v18, 16, v14
	v_mul_f16_e32 v20, v21, v14
	s_delay_alu instid0(VALU_DEP_1) | instskip(SKIP_1) | instid1(VALU_DEP_1)
	v_fma_f16 v20, v40, v18, -v20
	v_mul_f16_e32 v18, v21, v18
	v_fmac_f16_e32 v18, v40, v14
	v_pack_b32_f16 v14, v15, v19
	s_delay_alu instid0(VALU_DEP_2) | instskip(SKIP_2) | instid1(VALU_DEP_1)
	v_pack_b32_f16 v15, v18, v20
	ds_store_2addr_b32 v119, v15, v14 offset0:32 offset1:128
	v_mad_u64_u32 v[14:15], null, 0xffffdd80, s12, v[8:9]
	v_add_nc_u32_e32 v15, s13, v15
	s_delay_alu instid0(VALU_DEP_2) | instskip(NEXT) | instid1(VALU_DEP_2)
	v_add_co_u32 v18, vcc_lo, v14, s8
	v_add_co_ci_u32_e32 v19, vcc_lo, s9, v15, vcc_lo
	s_delay_alu instid0(VALU_DEP_2) | instskip(SKIP_3) | instid1(VALU_DEP_1)
	v_add_co_u32 v20, vcc_lo, v18, s14
	global_load_b32 v18, v[18:19], off
	v_add_co_ci_u32_e32 v21, vcc_lo, s15, v19, vcc_lo
	v_lshrrev_b32_e32 v19, 16, v22
	v_fma_f16 v23, v47, v19, -v23
	v_mul_f16_e32 v19, v24, v19
	s_delay_alu instid0(VALU_DEP_1) | instskip(SKIP_4) | instid1(VALU_DEP_1)
	v_fmac_f16_e32 v19, v47, v22
	v_lshlrev_b32_e32 v47, 2, v39
	s_waitcnt vmcnt(0)
	v_lshrrev_b32_e32 v22, 16, v18
	v_mul_f16_e32 v24, v25, v18
	v_fma_f16 v24, v36, v22, -v24
	v_mul_f16_e32 v22, v25, v22
	s_delay_alu instid0(VALU_DEP_1) | instskip(SKIP_1) | instid1(VALU_DEP_2)
	v_fmac_f16_e32 v22, v36, v18
	v_pack_b32_f16 v18, v19, v23
	v_pack_b32_f16 v19, v22, v24
	ds_store_2addr_b32 v107, v18, v19 offset0:128 offset1:224
	global_load_b32 v18, v[12:13], off
	v_add_co_u32 v12, vcc_lo, v20, s8
	v_add_co_ci_u32_e32 v13, vcc_lo, s9, v21, vcc_lo
	global_load_b32 v19, v[20:21], off
	s_clause 0x1
	global_load_b32 v21, v[4:5], off offset:128
	global_load_b32 v23, v[4:5], off offset:896
	global_load_b32 v10, v[10:11], off
	global_load_b32 v11, v[12:13], off
	v_lshrrev_b32_e32 v20, 16, v41
	scratch_store_b32 off, v20, off offset:144 ; 4-byte Folded Spill
	s_waitcnt vmcnt(5)
	v_lshrrev_b32_e32 v4, 16, v18
	v_mul_f16_e32 v5, v20, v18
	s_waitcnt vmcnt(3)
	v_lshrrev_b32_e32 v22, 16, v21
	s_delay_alu instid0(VALU_DEP_2) | instskip(SKIP_1) | instid1(VALU_DEP_3)
	v_fma_f16 v5, v41, v4, -v5
	v_mul_f16_e32 v4, v20, v4
	v_mul_f16_e32 v20, v22, v19
	s_delay_alu instid0(VALU_DEP_2) | instskip(SKIP_1) | instid1(VALU_DEP_2)
	v_fmac_f16_e32 v4, v41, v18
	v_lshrrev_b32_e32 v18, 16, v19
	v_pack_b32_f16 v4, v4, v5
	s_delay_alu instid0(VALU_DEP_2) | instskip(SKIP_1) | instid1(VALU_DEP_1)
	v_fma_f16 v20, v21, v18, -v20
	v_mul_f16_e32 v18, v22, v18
	v_fmac_f16_e32 v18, v21, v19
	v_lshrrev_b32_e32 v19, 16, v34
	s_delay_alu instid0(VALU_DEP_2)
	v_pack_b32_f16 v5, v18, v20
	s_waitcnt vmcnt(2)
	v_lshrrev_b32_e32 v18, 16, v23
	scratch_store_b32 off, v19, off offset:48 ; 4-byte Folded Spill
	ds_store_2addr_b32 v98, v4, v5 offset0:64 offset1:160
	v_add_co_u32 v4, vcc_lo, v12, s8
	v_add_co_ci_u32_e32 v5, vcc_lo, s9, v13, vcc_lo
	s_waitcnt vmcnt(1)
	v_lshrrev_b32_e32 v12, 16, v10
	v_mul_f16_e32 v13, v18, v10
	scratch_store_b32 off, v18, off offset:152 ; 4-byte Folded Spill
	v_fma_f16 v13, v23, v12, -v13
	v_mul_f16_e32 v12, v18, v12
	s_waitcnt vmcnt(0)
	v_mul_f16_e32 v18, v19, v11
	s_delay_alu instid0(VALU_DEP_2) | instskip(SKIP_1) | instid1(VALU_DEP_1)
	v_fmac_f16_e32 v12, v23, v10
	v_lshrrev_b32_e32 v10, 16, v11
	v_fma_f16 v18, v34, v10, -v18
	v_mul_f16_e32 v10, v19, v10
	s_delay_alu instid0(VALU_DEP_1) | instskip(SKIP_2) | instid1(VALU_DEP_3)
	v_fmac_f16_e32 v10, v34, v11
	v_pack_b32_f16 v11, v12, v13
	v_add_nc_u32_e32 v12, 0x1200, v125
	v_pack_b32_f16 v10, v10, v18
	s_delay_alu instid0(VALU_DEP_2)
	v_mov_b32_e32 v145, v12
	ds_store_2addr_b32 v12, v11, v10 offset0:96 offset1:192
	global_load_b32 v12, v47, s[4:5]
	global_load_b32 v10, v[6:7], off
	v_add_co_u32 v6, vcc_lo, v4, s14
	global_load_b32 v4, v[4:5], off
	v_add_co_ci_u32_e32 v7, vcc_lo, s15, v5, vcc_lo
	s_clause 0x1
	scratch_store_b32 off, v22, off offset:56
	scratch_store_b32 off, v41, off offset:140
	s_waitcnt vmcnt(2)
	scratch_store_b32 off, v12, off offset:124 ; 4-byte Folded Spill
	v_lshrrev_b32_e32 v13, 16, v12
	s_waitcnt vmcnt(1)
	v_lshrrev_b32_e32 v5, 16, v10
	s_clause 0x1
	scratch_store_b32 off, v23, off offset:148
	scratch_store_b32 off, v13, off offset:128
	v_mul_f16_e32 v11, v13, v10
	s_delay_alu instid0(VALU_DEP_1)
	v_fma_f16 v11, v12, v5, -v11
	v_mul_f16_e32 v5, v13, v5
	v_lshrrev_b32_e32 v13, 16, v32
	s_clause 0x2
	scratch_store_b32 off, v32, off offset:36
	scratch_store_b32 off, v34, off offset:44
	;; [unrolled: 1-line block ×3, first 2 shown]
	v_fmac_f16_e32 v5, v12, v10
	s_waitcnt vmcnt(0)
	v_lshrrev_b32_e32 v10, 16, v4
	v_mul_f16_e32 v12, v13, v4
	scratch_store_b32 off, v13, off offset:40 ; 4-byte Folded Spill
	v_fma_f16 v12, v32, v10, -v12
	v_mul_f16_e32 v10, v13, v10
	s_delay_alu instid0(VALU_DEP_1) | instskip(SKIP_1) | instid1(VALU_DEP_2)
	v_fmac_f16_e32 v10, v32, v4
	v_pack_b32_f16 v4, v5, v11
	v_pack_b32_f16 v5, v10, v12
	global_load_b32 v10, v[16:17], off
	ds_store_2addr_b32 v95, v4, v5 offset1:96
	v_add_co_u32 v4, vcc_lo, v6, s8
	v_add_co_ci_u32_e32 v5, vcc_lo, s9, v7, vcc_lo
	global_load_b32 v6, v[6:7], off
	s_clause 0x2
	global_load_b32 v7, v[0:1], off offset:256
	global_load_b32 v11, v[0:1], off offset:640
	;; [unrolled: 1-line block ×3, first 2 shown]
	s_waitcnt vmcnt(4)
	v_lshrrev_b32_e32 v0, 16, v10
	s_waitcnt vmcnt(2)
	v_lshrrev_b32_e32 v12, 16, v7
	s_clause 0x1
	scratch_store_b32 off, v7, off offset:104
	scratch_store_b32 off, v12, off offset:108
	v_mul_f16_e32 v1, v12, v10
	s_delay_alu instid0(VALU_DEP_1) | instskip(SKIP_3) | instid1(VALU_DEP_2)
	v_fma_f16 v1, v7, v0, -v1
	v_mul_f16_e32 v0, v12, v0
	s_waitcnt vmcnt(1)
	v_lshrrev_b32_e32 v12, 16, v11
	v_fmac_f16_e32 v0, v7, v10
	v_lshrrev_b32_e32 v7, 16, v6
	s_delay_alu instid0(VALU_DEP_3) | instskip(SKIP_4) | instid1(VALU_DEP_1)
	v_mul_f16_e32 v10, v12, v6
	scratch_store_b32 off, v12, off offset:24 ; 4-byte Folded Spill
	v_pack_b32_f16 v0, v0, v1
	v_fma_f16 v10, v11, v7, -v10
	v_mul_f16_e32 v7, v12, v7
	v_fmac_f16_e32 v7, v11, v6
	global_load_b32 v6, v[8:9], off
	s_waitcnt vmcnt(1)
	v_lshrrev_b32_e32 v8, 16, v13
	scratch_store_b32 off, v13, off offset:112 ; 4-byte Folded Spill
	v_lshrrev_b32_e32 v9, 16, v31
	v_pack_b32_f16 v1, v7, v10
	s_clause 0x3
	scratch_store_b32 off, v31, off offset:12
	scratch_store_b32 off, v11, off offset:20
	;; [unrolled: 1-line block ×4, first 2 shown]
	ds_store_2addr_b32 v176, v0, v1 offset0:64 offset1:160
	v_add_co_u32 v0, vcc_lo, v4, s8
	global_load_b32 v4, v[4:5], off
	v_add_co_ci_u32_e32 v1, vcc_lo, s9, v5, vcc_lo
	v_cmp_gt_u16_e32 vcc_lo, 60, v46
	s_waitcnt vmcnt(1)
	v_lshrrev_b32_e32 v5, 16, v6
	v_mul_f16_e32 v7, v8, v6
	s_delay_alu instid0(VALU_DEP_1) | instskip(SKIP_1) | instid1(VALU_DEP_1)
	v_fma_f16 v7, v13, v5, -v7
	v_mul_f16_e32 v5, v8, v5
	v_fmac_f16_e32 v5, v13, v6
	s_waitcnt vmcnt(0)
	v_lshrrev_b32_e32 v6, 16, v4
	v_mul_f16_e32 v8, v9, v4
	s_delay_alu instid0(VALU_DEP_1) | instskip(SKIP_1) | instid1(VALU_DEP_1)
	v_fma_f16 v8, v31, v6, -v8
	v_mul_f16_e32 v6, v9, v6
	v_fmac_f16_e32 v6, v31, v4
	v_pack_b32_f16 v4, v5, v7
	s_delay_alu instid0(VALU_DEP_2)
	v_pack_b32_f16 v5, v6, v8
	ds_store_2addr_b32 v118, v4, v5 offset0:96 offset1:192
	global_load_b32 v2, v[2:3], off
	global_load_b32 v0, v[0:1], off
	global_load_b32 v4, v48, s[4:5]
	s_load_b128 s[8:11], s[10:11], 0x0
	s_waitcnt lgkmcnt(0)
	s_mul_hi_u32 s12, s8, 0x480
	s_mul_i32 s13, s8, 0x480
	s_mul_hi_u32 s14, s8, 0x900
	s_mul_i32 s15, s8, 0x900
	s_waitcnt vmcnt(2)
	v_lshrrev_b32_e32 v1, 16, v2
	s_waitcnt vmcnt(0)
	v_lshrrev_b32_e32 v5, 16, v4
	s_clause 0x1
	scratch_store_b32 off, v4, off offset:88
	scratch_store_b32 off, v5, off offset:92
	v_mul_f16_e32 v3, v5, v2
	s_delay_alu instid0(VALU_DEP_1)
	v_fma_f16 v3, v4, v1, -v3
	v_mul_f16_e32 v1, v5, v1
	v_lshrrev_b32_e32 v5, 16, v30
	scratch_store_b32 off, v30, off offset:4 ; 4-byte Folded Spill
	v_fmac_f16_e32 v1, v4, v2
	scratch_store_b32 off, v5, off offset:8 ; 4-byte Folded Spill
	v_lshrrev_b32_e32 v2, 16, v0
	v_mul_f16_e32 v4, v5, v0
	s_delay_alu instid0(VALU_DEP_1) | instskip(SKIP_1) | instid1(VALU_DEP_1)
	v_fma_f16 v4, v30, v2, -v4
	v_mul_f16_e32 v2, v5, v2
	v_fmac_f16_e32 v2, v30, v0
	v_pack_b32_f16 v0, v1, v3
	v_lshrrev_b32_e32 v3, 16, v38
	scratch_store_b32 off, v38, off offset:76 ; 4-byte Folded Spill
	v_pack_b32_f16 v1, v2, v4
	scratch_store_b32 off, v3, off offset:80 ; 4-byte Folded Spill
	ds_store_2addr_b32 v178, v0, v1 offset0:128 offset1:224
	global_load_b32 v0, v[14:15], off
	s_waitcnt vmcnt(0)
	v_lshrrev_b32_e32 v1, 16, v0
	v_mul_f16_e32 v2, v3, v0
	s_delay_alu instid0(VALU_DEP_1) | instskip(SKIP_1) | instid1(VALU_DEP_1)
	v_fma_f16 v2, v38, v1, -v2
	v_mul_f16_e32 v1, v3, v1
	v_fmac_f16_e32 v1, v38, v0
	s_delay_alu instid0(VALU_DEP_1)
	v_pack_b32_f16 v0, v1, v2
	ds_store_b32 v125, v0 offset:768
	s_waitcnt lgkmcnt(0)
	s_waitcnt_vscnt null, 0x0
	s_barrier
	buffer_gl0_inv
	ds_load_2addr_b32 v[14:15], v136 offset0:64 offset1:160
	ds_load_2addr_b32 v[12:13], v134 offset0:128 offset1:224
	;; [unrolled: 1-line block ×3, first 2 shown]
	ds_load_2addr_b32 v[16:17], v118 offset1:96
	ds_load_2addr_b32 v[4:5], v135 offset1:96
	ds_load_2addr_b32 v[2:3], v123 offset0:64 offset1:160
	ds_load_2addr_b32 v[6:7], v119 offset0:128 offset1:224
	;; [unrolled: 1-line block ×3, first 2 shown]
	s_waitcnt lgkmcnt(7)
	v_lshrrev_b32_e32 v38, 16, v14
	s_waitcnt lgkmcnt(6)
	v_sub_f16_e32 v0, v12, v14
	s_waitcnt lgkmcnt(4)
	v_sub_f16_e32 v1, v18, v16
	v_lshrrev_b32_e32 v35, 16, v12
	s_waitcnt lgkmcnt(0)
	v_sub_f16_e32 v10, v7, v9
	v_lshrrev_b32_e32 v34, 16, v18
	v_lshrrev_b32_e32 v37, 16, v16
	v_add_f16_e32 v0, v0, v1
	v_sub_f16_e32 v1, v3, v5
	v_sub_f16_e32 v25, v12, v18
	;; [unrolled: 1-line block ×5, first 2 shown]
	v_add_f16_e32 v32, v1, v10
	ds_load_2addr_b32 v[10:11], v125 offset1:96
	v_add_f16_e32 v1, v35, v34
	v_sub_f16_e32 v28, v14, v16
	v_lshrrev_b32_e32 v42, 16, v3
	v_lshrrev_b32_e32 v41, 16, v7
	;; [unrolled: 1-line block ×4, first 2 shown]
	v_sub_f16_e32 v36, v5, v9
	v_sub_f16_e32 v57, v16, v18
	v_add_f16_e32 v27, v42, v41
	s_delay_alu instid0(VALU_DEP_4) | instskip(SKIP_4) | instid1(VALU_DEP_1)
	v_add_f16_e32 v30, v50, v49
	v_sub_f16_e32 v31, v50, v49
	v_sub_f16_e32 v33, v41, v49
	s_waitcnt lgkmcnt(0)
	v_lshrrev_b32_e32 v20, 16, v10
	v_fma_f16 v21, -0.5, v1, v20
	v_add_f16_e32 v1, v38, v37
	v_add_f16_e32 v39, v20, v38
	s_delay_alu instid0(VALU_DEP_2) | instskip(SKIP_1) | instid1(VALU_DEP_3)
	v_fmac_f16_e32 v20, -0.5, v1
	v_sub_f16_e32 v1, v35, v38
	v_add_f16_e32 v39, v39, v35
	v_sub_f16_e32 v35, v38, v35
	s_delay_alu instid0(VALU_DEP_4) | instskip(NEXT) | instid1(VALU_DEP_4)
	v_fmamk_f16 v29, v25, 0x3b9c, v20
	v_add_f16_e32 v1, v1, v22
	v_add_f16_e32 v22, v14, v16
	v_fmac_f16_e32 v20, 0xbb9c, v25
	v_add_f16_e32 v38, v39, v34
	v_fmac_f16_e32 v29, 0xb8b4, v28
	v_sub_f16_e32 v34, v37, v34
	v_fma_f16 v22, -0.5, v22, v10
	v_fmac_f16_e32 v20, 0x38b4, v28
	v_add_f16_e32 v39, v38, v37
	v_fmac_f16_e32 v29, 0x34f2, v1
	v_sub_f16_e32 v37, v49, v41
	v_fmamk_f16 v26, v23, 0xbb9c, v22
	v_fmac_f16_e32 v22, 0x3b9c, v23
	v_fmac_f16_e32 v20, 0x34f2, v1
	s_delay_alu instid0(VALU_DEP_3) | instskip(NEXT) | instid1(VALU_DEP_3)
	v_fmac_f16_e32 v26, 0x38b4, v24
	v_fmac_f16_e32 v22, 0xb8b4, v24
	s_delay_alu instid0(VALU_DEP_2) | instskip(NEXT) | instid1(VALU_DEP_2)
	v_fmac_f16_e32 v26, 0x34f2, v0
	v_fmac_f16_e32 v22, 0x34f2, v0
	ds_load_2addr_b32 v[0:1], v137 offset0:64 offset1:160
	s_waitcnt lgkmcnt(0)
	v_lshrrev_b32_e32 v40, 16, v1
	s_delay_alu instid0(VALU_DEP_1) | instskip(SKIP_3) | instid1(VALU_DEP_1)
	v_fma_f16 v27, -0.5, v27, v40
	v_add_f16_e32 v51, v40, v50
	v_fmac_f16_e32 v40, -0.5, v30
	v_add_f16_e32 v30, v5, v9
	v_fma_f16 v52, -0.5, v30, v1
	v_sub_f16_e32 v30, v42, v41
	s_delay_alu instid0(VALU_DEP_1) | instskip(SKIP_1) | instid1(VALU_DEP_2)
	v_fmamk_f16 v53, v30, 0xbb9c, v52
	v_fmac_f16_e32 v52, 0x3b9c, v30
	v_fmac_f16_e32 v53, 0x38b4, v31
	s_delay_alu instid0(VALU_DEP_2) | instskip(NEXT) | instid1(VALU_DEP_2)
	v_fmac_f16_e32 v52, 0xb8b4, v31
	v_fmac_f16_e32 v53, 0x34f2, v32
	s_delay_alu instid0(VALU_DEP_2) | instskip(SKIP_1) | instid1(VALU_DEP_1)
	v_fmac_f16_e32 v52, 0x34f2, v32
	v_sub_f16_e32 v32, v42, v50
	v_add_f16_e32 v33, v32, v33
	v_sub_f16_e32 v32, v3, v7
	s_delay_alu instid0(VALU_DEP_1) | instskip(SKIP_1) | instid1(VALU_DEP_2)
	v_fmamk_f16 v54, v32, 0x3b9c, v40
	v_fmac_f16_e32 v40, 0xbb9c, v32
	v_fmac_f16_e32 v54, 0xb8b4, v36
	s_delay_alu instid0(VALU_DEP_2) | instskip(NEXT) | instid1(VALU_DEP_2)
	v_fmac_f16_e32 v40, 0x38b4, v36
	v_fmac_f16_e32 v54, 0x34f2, v33
	s_delay_alu instid0(VALU_DEP_2) | instskip(SKIP_1) | instid1(VALU_DEP_1)
	v_fmac_f16_e32 v40, 0x34f2, v33
	v_mul_f16_e32 v33, 0xb4f2, v52
	v_fmac_f16_e32 v33, 0x3b9c, v40
	v_mul_f16_e32 v40, 0xb4f2, v40
	s_delay_alu instid0(VALU_DEP_1) | instskip(SKIP_1) | instid1(VALU_DEP_2)
	v_fmac_f16_e32 v40, 0xbb9c, v52
	v_mul_f16_e32 v52, 0x3b9c, v54
	v_add_f16_e32 v55, v20, v40
	s_delay_alu instid0(VALU_DEP_2) | instskip(SKIP_1) | instid1(VALU_DEP_1)
	v_fmac_f16_e32 v52, 0x34f2, v53
	v_mul_f16_e32 v53, 0xbb9c, v53
	v_fmac_f16_e32 v53, 0x34f2, v54
	v_add_f16_e32 v54, v22, v33
	s_delay_alu instid0(VALU_DEP_2) | instskip(NEXT) | instid1(VALU_DEP_2)
	v_add_f16_e32 v56, v29, v53
	v_pack_b32_f16 v55, v54, v55
	v_add_f16_e32 v54, v26, v52
	s_delay_alu instid0(VALU_DEP_1) | instskip(SKIP_1) | instid1(VALU_DEP_1)
	v_pack_b32_f16 v54, v54, v56
	v_sub_f16_e32 v56, v14, v12
	v_add_f16_e32 v56, v56, v57
	v_add_f16_e32 v57, v35, v34
	v_sub_f16_e32 v34, v5, v3
	v_sub_f16_e32 v35, v9, v7
	s_delay_alu instid0(VALU_DEP_1) | instskip(SKIP_2) | instid1(VALU_DEP_2)
	v_add_f16_e32 v58, v34, v35
	v_add_f16_e32 v34, v51, v42
	v_sub_f16_e32 v35, v50, v42
	v_add_f16_e32 v34, v34, v41
	s_delay_alu instid0(VALU_DEP_2) | instskip(SKIP_2) | instid1(VALU_DEP_4)
	v_add_f16_e32 v41, v35, v37
	v_fmamk_f16 v35, v36, 0xbb9c, v27
	v_fmac_f16_e32 v27, 0x3b9c, v36
	v_add_f16_e32 v42, v34, v49
	v_add_f16_e32 v34, v3, v7
	s_delay_alu instid0(VALU_DEP_4) | instskip(NEXT) | instid1(VALU_DEP_4)
	v_fmac_f16_e32 v35, 0xb8b4, v32
	v_fmac_f16_e32 v27, 0x38b4, v32
	s_delay_alu instid0(VALU_DEP_3) | instskip(SKIP_1) | instid1(VALU_DEP_4)
	v_fma_f16 v49, -0.5, v34, v1
	v_add_f16_e32 v1, v1, v5
	v_fmac_f16_e32 v35, 0x34f2, v41
	s_delay_alu instid0(VALU_DEP_4) | instskip(NEXT) | instid1(VALU_DEP_4)
	v_fmac_f16_e32 v27, 0x34f2, v41
	v_fmamk_f16 v34, v31, 0x3b9c, v49
	s_delay_alu instid0(VALU_DEP_4)
	v_add_f16_e32 v1, v1, v3
	v_fmamk_f16 v3, v28, 0xbb9c, v21
	v_fmac_f16_e32 v49, 0xbb9c, v31
	v_fmac_f16_e32 v21, 0x3b9c, v28
	;; [unrolled: 1-line block ×3, first 2 shown]
	v_add_f16_e32 v1, v1, v7
	v_fmac_f16_e32 v3, 0xb8b4, v25
	v_fmac_f16_e32 v49, 0xb8b4, v30
	;; [unrolled: 1-line block ×4, first 2 shown]
	v_add_f16_e32 v1, v1, v9
	v_fmac_f16_e32 v3, 0x34f2, v57
	v_fmac_f16_e32 v49, 0x34f2, v58
	;; [unrolled: 1-line block ×3, first 2 shown]
	v_mul_f16_e32 v37, 0x3a79, v34
	v_mul_f16_e32 v38, 0xb8b4, v34
	v_add_f16_e32 v34, v12, v18
	s_delay_alu instid0(VALU_DEP_3) | instskip(NEXT) | instid1(VALU_DEP_3)
	v_fmac_f16_e32 v37, 0x38b4, v35
	v_fmac_f16_e32 v38, 0x3a79, v35
	s_delay_alu instid0(VALU_DEP_3) | instskip(SKIP_2) | instid1(VALU_DEP_4)
	v_fma_f16 v50, -0.5, v34, v10
	v_add_f16_e32 v10, v10, v14
	v_lshrrev_b32_e32 v14, 16, v13
	v_add_f16_e32 v9, v3, v38
	v_sub_f16_e32 v3, v3, v38
	s_delay_alu instid0(VALU_DEP_4) | instskip(SKIP_2) | instid1(VALU_DEP_3)
	v_add_f16_e32 v10, v10, v12
	v_fmamk_f16 v12, v24, 0x3b9c, v50
	v_fmac_f16_e32 v50, 0xbb9c, v24
	v_add_f16_e32 v5, v10, v18
	s_delay_alu instid0(VALU_DEP_3) | instskip(NEXT) | instid1(VALU_DEP_3)
	v_fmac_f16_e32 v12, 0x38b4, v23
	v_fmac_f16_e32 v50, 0xb8b4, v23
	v_sub_f16_e32 v10, v29, v53
	v_sub_f16_e32 v18, v15, v17
	v_add_f16_e32 v5, v5, v16
	v_fmac_f16_e32 v12, 0x34f2, v56
	v_fmac_f16_e32 v50, 0x34f2, v56
	v_lshrrev_b32_e32 v16, 16, v19
	s_delay_alu instid0(VALU_DEP_3) | instskip(NEXT) | instid1(VALU_DEP_1)
	v_add_f16_e32 v7, v12, v37
	v_pack_b32_f16 v35, v7, v9
	v_add_f16_e32 v7, v5, v1
	v_add_f16_e32 v9, v39, v42
	v_sub_f16_e32 v1, v5, v1
	v_sub_f16_e32 v5, v39, v42
	s_delay_alu instid0(VALU_DEP_3) | instskip(SKIP_2) | instid1(VALU_DEP_4)
	v_pack_b32_f16 v34, v7, v9
	v_sub_f16_e32 v7, v12, v37
	v_sub_f16_e32 v9, v26, v52
	v_pack_b32_f16 v24, v1, v5
	v_mul_lo_u16 v1, v46, 10
	v_sub_f16_e32 v12, v13, v15
	v_pack_b32_f16 v37, v7, v3
	v_mul_f16_e32 v3, 0xba79, v49
	v_mul_f16_e32 v7, 0xba79, v27
	v_pack_b32_f16 v38, v9, v10
	v_and_b32_e32 v1, 0xffff, v1
	s_delay_alu instid0(VALU_DEP_4) | instskip(NEXT) | instid1(VALU_DEP_4)
	v_fmac_f16_e32 v3, 0x38b4, v27
	v_fmac_f16_e32 v7, 0xb8b4, v49
	s_delay_alu instid0(VALU_DEP_3) | instskip(SKIP_1) | instid1(VALU_DEP_4)
	v_lshlrev_b32_e32 v142, 2, v1
	v_sub_f16_e32 v1, v22, v33
	v_add_f16_e32 v9, v50, v3
	v_sub_f16_e32 v3, v50, v3
	v_sub_f16_e32 v5, v21, v7
	v_add_f16_e32 v10, v21, v7
	v_sub_f16_e32 v7, v20, v40
	s_delay_alu instid0(VALU_DEP_3) | instskip(SKIP_1) | instid1(VALU_DEP_3)
	v_pack_b32_f16 v21, v3, v5
	v_add_f16_e32 v3, v11, v15
	v_pack_b32_f16 v20, v1, v7
	v_lshrrev_b32_e32 v1, 16, v15
	v_add_f16_e32 v5, v15, v17
	v_sub_f16_e32 v7, v15, v13
	v_add_f16_e32 v3, v3, v13
	v_add_f16_e32 v15, v13, v19
	v_pack_b32_f16 v23, v9, v10
	ds_load_2addr_b32 v[9:10], v107 offset0:128 offset1:224
	ds_load_2addr_b32 v[25:26], v98 offset0:64 offset1:160
	ds_load_2addr_b32 v[27:28], v95 offset1:96
	ds_load_2addr_b32 v[29:30], v176 offset0:64 offset1:160
	ds_load_2addr_b32 v[31:32], v178 offset0:128 offset1:224
	s_waitcnt lgkmcnt(0)
	v_add_f16_e32 v3, v3, v19
	s_barrier
	buffer_gl0_inv
	ds_store_2addr_b64 v142, v[34:35], v[54:55] offset1:1
	ds_store_2addr_b64 v142, v[23:24], v[37:38] offset0:2 offset1:3
	ds_store_b64 v142, v[20:21] offset:32
	v_sub_f16_e32 v20, v13, v19
	v_sub_f16_e32 v21, v17, v19
	v_sub_f16_e32 v13, v19, v17
	v_add_f16_e32 v3, v3, v17
	v_lshrrev_b32_e32 v17, 16, v17
	v_fma_f16 v22, -0.5, v15, v11
	v_lshrrev_b32_e32 v23, 16, v11
	v_fmac_f16_e32 v11, -0.5, v5
	v_sub_f16_e32 v19, v14, v16
	v_sub_f16_e32 v33, v1, v17
	v_add_f16_e32 v5, v12, v13
	v_add_f16_e32 v12, v1, v17
	;; [unrolled: 1-line block ×3, first 2 shown]
	v_fmamk_f16 v24, v19, 0xbb9c, v11
	v_fmac_f16_e32 v11, 0x3b9c, v19
	v_sub_f16_e32 v13, v16, v17
	v_lshrrev_b32_e32 v35, 16, v27
	v_lshrrev_b32_e32 v36, 16, v29
	v_fmac_f16_e32 v24, 0x38b4, v33
	v_fmac_f16_e32 v11, 0xb8b4, v33
	v_lshrrev_b32_e32 v39, 16, v25
	v_lshrrev_b32_e32 v40, 16, v31
	v_sub_f16_e32 v37, v35, v36
	v_fmac_f16_e32 v24, 0x34f2, v5
	v_fmac_f16_e32 v11, 0x34f2, v5
	v_add_f16_e32 v5, v14, v16
	v_sub_f16_e32 v41, v39, v40
	v_add_f16_e32 v42, v35, v36
	v_add_f16_e32 v49, v39, v40
	v_sub_f16_e32 v51, v36, v40
	v_fma_f16 v5, -0.5, v5, v23
	v_fmac_f16_e32 v23, -0.5, v12
	v_sub_f16_e32 v12, v14, v1
	v_sub_f16_e32 v53, v25, v31
	v_add_f16_e32 v15, v15, v14
	v_sub_f16_e32 v1, v1, v14
	v_fmamk_f16 v34, v20, 0x3b9c, v23
	v_fmac_f16_e32 v23, 0xbb9c, v20
	v_add_f16_e32 v12, v12, v13
	v_sub_f16_e32 v13, v29, v31
	v_add_f16_e32 v14, v15, v16
	v_fmac_f16_e32 v34, 0xb8b4, v18
	v_fmac_f16_e32 v23, 0x38b4, v18
	v_sub_f16_e32 v15, v17, v16
	v_add_f16_e32 v7, v7, v21
	v_add_f16_e32 v21, v14, v17
	v_fmac_f16_e32 v34, 0x34f2, v12
	v_fmac_f16_e32 v23, 0x34f2, v12
	v_sub_f16_e32 v12, v27, v25
	v_add_f16_e32 v1, v1, v15
	v_sub_f16_e32 v14, v25, v27
	v_sub_f16_e32 v15, v31, v29
	v_sub_f16_e32 v16, v40, v36
	v_add_f16_e32 v12, v12, v13
	v_add_f16_e32 v13, v25, v31
	s_delay_alu instid0(VALU_DEP_1) | instskip(NEXT) | instid1(VALU_DEP_1)
	v_fma_f16 v13, -0.5, v13, v9
	v_fmamk_f16 v38, v37, 0xbb9c, v13
	v_fmac_f16_e32 v13, 0x3b9c, v37
	s_delay_alu instid0(VALU_DEP_2) | instskip(NEXT) | instid1(VALU_DEP_2)
	v_fmac_f16_e32 v38, 0x38b4, v41
	v_fmac_f16_e32 v13, 0xb8b4, v41
	s_delay_alu instid0(VALU_DEP_2) | instskip(NEXT) | instid1(VALU_DEP_2)
	v_fmac_f16_e32 v38, 0x34f2, v12
	v_fmac_f16_e32 v13, 0x34f2, v12
	v_lshrrev_b32_e32 v12, 16, v9
	s_delay_alu instid0(VALU_DEP_1) | instskip(SKIP_3) | instid1(VALU_DEP_1)
	v_fma_f16 v42, -0.5, v42, v12
	v_add_f16_e32 v50, v12, v39
	v_fmac_f16_e32 v12, -0.5, v49
	v_sub_f16_e32 v49, v35, v39
	v_add_f16_e32 v49, v49, v51
	v_sub_f16_e32 v51, v27, v29
	s_delay_alu instid0(VALU_DEP_1) | instskip(SKIP_1) | instid1(VALU_DEP_2)
	v_fmamk_f16 v52, v51, 0x3b9c, v12
	v_fmac_f16_e32 v12, 0xbb9c, v51
	v_fmac_f16_e32 v52, 0xb8b4, v53
	s_delay_alu instid0(VALU_DEP_2) | instskip(NEXT) | instid1(VALU_DEP_2)
	v_fmac_f16_e32 v12, 0x38b4, v53
	v_fmac_f16_e32 v52, 0x34f2, v49
	s_delay_alu instid0(VALU_DEP_2) | instskip(SKIP_1) | instid1(VALU_DEP_3)
	v_fmac_f16_e32 v12, 0x34f2, v49
	v_mul_f16_e32 v49, 0xb4f2, v13
	v_mul_f16_e32 v55, 0x3b9c, v52
	s_delay_alu instid0(VALU_DEP_3) | instskip(NEXT) | instid1(VALU_DEP_3)
	v_mul_f16_e32 v54, 0xb4f2, v12
	v_fmac_f16_e32 v49, 0x3b9c, v12
	s_delay_alu instid0(VALU_DEP_3) | instskip(NEXT) | instid1(VALU_DEP_3)
	v_fmac_f16_e32 v55, 0x34f2, v38
	v_fmac_f16_e32 v54, 0xbb9c, v13
	v_mul_f16_e32 v38, 0xbb9c, v38
	s_delay_alu instid0(VALU_DEP_4) | instskip(NEXT) | instid1(VALU_DEP_3)
	v_add_f16_e32 v12, v11, v49
	v_add_f16_e32 v13, v23, v54
	s_delay_alu instid0(VALU_DEP_3) | instskip(NEXT) | instid1(VALU_DEP_2)
	v_fmac_f16_e32 v38, 0x34f2, v52
	v_pack_b32_f16 v13, v12, v13
	v_add_f16_e32 v12, v24, v55
	s_delay_alu instid0(VALU_DEP_3) | instskip(SKIP_1) | instid1(VALU_DEP_2)
	v_add_f16_e32 v52, v34, v38
	v_sub_f16_e32 v24, v24, v55
	v_pack_b32_f16 v12, v12, v52
	v_add_f16_e32 v52, v14, v15
	v_add_f16_e32 v14, v50, v35
	v_sub_f16_e32 v15, v39, v35
	s_delay_alu instid0(VALU_DEP_2) | instskip(NEXT) | instid1(VALU_DEP_2)
	v_add_f16_e32 v14, v14, v36
	v_add_f16_e32 v36, v15, v16
	v_fmamk_f16 v15, v53, 0xbb9c, v42
	v_fmac_f16_e32 v42, 0x3b9c, v53
	s_delay_alu instid0(VALU_DEP_4) | instskip(SKIP_1) | instid1(VALU_DEP_4)
	v_add_f16_e32 v35, v14, v40
	v_add_f16_e32 v14, v27, v29
	v_fmac_f16_e32 v15, 0xb8b4, v51
	v_fmamk_f16 v40, v33, 0x3b9c, v22
	v_fmac_f16_e32 v22, 0xbb9c, v33
	v_fmac_f16_e32 v42, 0x38b4, v51
	v_fma_f16 v39, -0.5, v14, v9
	v_add_f16_e32 v9, v9, v25
	v_fmamk_f16 v25, v18, 0xbb9c, v5
	v_fmac_f16_e32 v5, 0x3b9c, v18
	v_fmac_f16_e32 v15, 0x34f2, v36
	v_fmamk_f16 v14, v41, 0x3b9c, v39
	v_fmac_f16_e32 v39, 0xbb9c, v41
	v_fmac_f16_e32 v40, 0x38b4, v19
	v_add_f16_e32 v9, v9, v27
	v_fmac_f16_e32 v25, 0xb8b4, v20
	v_fmac_f16_e32 v14, 0x38b4, v37
	;; [unrolled: 1-line block ×8, first 2 shown]
	v_add_f16_e32 v9, v9, v29
	v_fmac_f16_e32 v40, 0x34f2, v7
	v_fmac_f16_e32 v25, 0x34f2, v1
	v_mul_f16_e32 v16, 0x3a79, v14
	v_mul_f16_e32 v17, 0xb8b4, v14
	v_fmac_f16_e32 v22, 0x34f2, v7
	v_fmac_f16_e32 v5, 0x34f2, v1
	v_mul_f16_e32 v1, 0xba79, v39
	v_fmac_f16_e32 v16, 0x38b4, v15
	v_fmac_f16_e32 v17, 0x3a79, v15
	v_mul_f16_e32 v7, 0xba79, v42
	v_add_f16_e32 v9, v9, v31
	v_fmac_f16_e32 v1, 0x38b4, v42
	v_add_f16_e32 v14, v40, v16
	v_add_f16_e32 v15, v25, v17
	v_sub_f16_e32 v16, v40, v16
	v_sub_f16_e32 v17, v25, v17
	;; [unrolled: 1-line block ×3, first 2 shown]
	v_fmac_f16_e32 v7, 0xb8b4, v39
	v_pack_b32_f16 v15, v14, v15
	v_add_f16_e32 v14, v3, v9
	v_pack_b32_f16 v16, v16, v17
	v_pack_b32_f16 v17, v24, v25
	v_sub_f16_e32 v3, v3, v9
	v_sub_f16_e32 v9, v21, v35
	v_add_f16_e32 v18, v22, v1
	v_add_f16_e32 v19, v5, v7
	v_add_co_u32 v24, null, 0x60, v120
	v_add_f16_e32 v27, v21, v35
	v_sub_f16_e32 v1, v22, v1
	s_delay_alu instid0(VALU_DEP_4)
	v_pack_b32_f16 v18, v18, v19
	v_pack_b32_f16 v19, v3, v9
	v_mul_u32_u24_e32 v3, 10, v24
	v_pack_b32_f16 v14, v14, v27
	v_sub_f16_e32 v5, v5, v7
	v_sub_f16_e32 v7, v23, v54
	;; [unrolled: 1-line block ×3, first 2 shown]
	v_lshlrev_b32_e32 v149, 2, v3
	ds_store_2addr_b64 v149, v[14:15], v[12:13] offset1:1
	ds_store_2addr_b64 v149, v[18:19], v[16:17] offset0:2 offset1:3
	v_pack_b32_f16 v12, v1, v5
	v_add_f16_e32 v1, v0, v4
	v_sub_f16_e32 v3, v11, v49
	v_sub_f16_e32 v5, v4, v2
	;; [unrolled: 1-line block ×3, first 2 shown]
	v_lshrrev_b32_e32 v14, 16, v2
	v_add_f16_e32 v1, v1, v2
	v_pack_b32_f16 v11, v3, v7
	v_lshrrev_b32_e32 v3, 16, v4
	v_add_f16_e32 v7, v4, v8
	v_sub_f16_e32 v15, v2, v6
	v_add_f16_e32 v1, v1, v6
	ds_store_b64 v149, v[11:12] offset:32
	v_sub_f16_e32 v11, v4, v8
	v_lshrrev_b32_e32 v4, 16, v8
	v_lshrrev_b32_e32 v17, 16, v0
	v_add_f16_e32 v12, v1, v8
	v_sub_f16_e32 v1, v6, v8
	v_add_f16_e32 v8, v2, v6
	v_lshrrev_b32_e32 v6, 16, v6
	v_add_f16_e32 v19, v17, v3
	v_lshrrev_b32_e32 v20, 16, v26
	v_add_f16_e32 v1, v9, v1
	v_fma_f16 v16, -0.5, v8, v0
	v_fmac_f16_e32 v0, -0.5, v7
	v_sub_f16_e32 v7, v14, v6
	v_sub_f16_e32 v9, v3, v4
	;; [unrolled: 1-line block ×3, first 2 shown]
	v_add_f16_e32 v2, v26, v32
	v_sub_f16_e32 v21, v26, v28
	v_fmamk_f16 v8, v7, 0xbb9c, v0
	v_fmac_f16_e32 v0, 0x3b9c, v7
	v_sub_f16_e32 v22, v28, v26
	v_sub_f16_e32 v23, v26, v32
	v_lshrrev_b32_e32 v25, 16, v28
	v_fmac_f16_e32 v8, 0x38b4, v9
	v_fmac_f16_e32 v0, 0xb8b4, v9
	v_sub_f16_e32 v27, v28, v30
	v_sub_f16_e32 v29, v32, v30
	v_add_f16_e32 v13, v5, v13
	v_fmac_f16_e32 v8, 0x34f2, v1
	v_fmac_f16_e32 v0, 0x34f2, v1
	v_add_f16_e32 v1, v14, v6
	v_add_f16_e32 v5, v19, v14
	;; [unrolled: 1-line block ×3, first 2 shown]
	s_delay_alu instid0(VALU_DEP_3) | instskip(SKIP_1) | instid1(VALU_DEP_4)
	v_fma_f16 v18, -0.5, v1, v17
	v_add_f16_e32 v1, v3, v4
	v_add_f16_e32 v5, v5, v6
	v_sub_f16_e32 v6, v4, v6
	s_delay_alu instid0(VALU_DEP_4) | instskip(NEXT) | instid1(VALU_DEP_4)
	v_fmamk_f16 v29, v11, 0xbb9c, v18
	v_fmac_f16_e32 v17, -0.5, v1
	v_add_f16_e32 v1, v10, v26
	v_add_f16_e32 v26, v28, v30
	;; [unrolled: 1-line block ×3, first 2 shown]
	v_sub_f16_e32 v4, v20, v25
	v_fmac_f16_e32 v29, 0xb8b4, v15
	v_add_f16_e32 v1, v1, v28
	v_lshrrev_b32_e32 v28, 16, v30
	v_fma_f16 v26, -0.5, v26, v10
	v_fmac_f16_e32 v18, 0x3b9c, v11
	s_delay_alu instid0(VALU_DEP_4) | instskip(SKIP_1) | instid1(VALU_DEP_3)
	v_add_f16_e32 v1, v1, v30
	v_sub_f16_e32 v30, v30, v32
	v_fmac_f16_e32 v18, 0x38b4, v15
	s_delay_alu instid0(VALU_DEP_3) | instskip(SKIP_3) | instid1(VALU_DEP_3)
	v_add_f16_e32 v31, v1, v32
	v_sub_f16_e32 v1, v14, v3
	v_lshrrev_b32_e32 v32, 16, v32
	v_sub_f16_e32 v3, v3, v14
	v_add_f16_e32 v1, v1, v33
	v_fmamk_f16 v33, v15, 0x3b9c, v17
	v_fmac_f16_e32 v17, 0xbb9c, v15
	v_sub_f16_e32 v35, v28, v32
	v_add_f16_e32 v14, v3, v6
	v_sub_f16_e32 v37, v20, v32
	v_fmac_f16_e32 v33, 0xb8b4, v11
	v_fmac_f16_e32 v17, 0x38b4, v11
	v_sub_f16_e32 v5, v32, v28
	v_fmac_f16_e32 v29, 0x34f2, v14
	v_fmac_f16_e32 v18, 0x34f2, v14
	;; [unrolled: 1-line block ×4, first 2 shown]
	v_lshrrev_b32_e32 v1, 16, v10
	v_fmac_f16_e32 v10, -0.5, v2
	v_add_f16_e32 v2, v22, v30
	v_add_f16_e32 v22, v25, v28
	;; [unrolled: 1-line block ×4, first 2 shown]
	s_delay_alu instid0(VALU_DEP_3) | instskip(NEXT) | instid1(VALU_DEP_3)
	v_fma_f16 v22, -0.5, v22, v1
	v_fmac_f16_e32 v1, -0.5, v30
	v_sub_f16_e32 v30, v25, v20
	s_delay_alu instid0(VALU_DEP_4)
	v_add_f16_e32 v3, v34, v25
	v_add_f16_e32 v20, v4, v5
	v_fmamk_f16 v4, v23, 0xbb9c, v22
	v_fmac_f16_e32 v22, 0x3b9c, v23
	v_add_f16_e32 v30, v30, v35
	v_fmamk_f16 v35, v27, 0x3b9c, v1
	v_fmac_f16_e32 v1, 0xbb9c, v27
	v_add_f16_e32 v3, v3, v28
	v_fmac_f16_e32 v4, 0xb8b4, v27
	v_fmac_f16_e32 v22, 0x38b4, v27
	;; [unrolled: 1-line block ×4, first 2 shown]
	s_delay_alu instid0(VALU_DEP_4) | instskip(NEXT) | instid1(VALU_DEP_4)
	v_fmac_f16_e32 v4, 0x34f2, v20
	v_fmac_f16_e32 v22, 0x34f2, v20
	s_delay_alu instid0(VALU_DEP_4) | instskip(NEXT) | instid1(VALU_DEP_4)
	v_fmac_f16_e32 v35, 0x34f2, v30
	v_fmac_f16_e32 v1, 0x34f2, v30
	v_sub_f16_e32 v30, v25, v28
	v_add_f16_e32 v25, v3, v32
	v_fmamk_f16 v3, v37, 0x3b9c, v26
	v_mul_f16_e32 v39, 0x3b9c, v35
	v_mul_f16_e32 v38, 0xb4f2, v1
	v_fmamk_f16 v36, v30, 0xbb9c, v10
	v_fmac_f16_e32 v10, 0x3b9c, v30
	v_fmac_f16_e32 v3, 0x38b4, v30
	v_fmamk_f16 v28, v9, 0x3b9c, v16
	v_fmac_f16_e32 v26, 0xbb9c, v37
	v_fmac_f16_e32 v36, 0x38b4, v37
	;; [unrolled: 1-line block ×8, first 2 shown]
	v_mul_f16_e32 v5, 0x3a79, v3
	v_mul_f16_e32 v6, 0xb8b4, v3
	v_fmac_f16_e32 v28, 0x34f2, v13
	v_fmac_f16_e32 v39, 0x34f2, v36
	;; [unrolled: 1-line block ×3, first 2 shown]
	v_mul_f16_e32 v10, 0xb4f2, v10
	v_mul_f16_e32 v36, 0xbb9c, v36
	v_fmac_f16_e32 v5, 0x38b4, v4
	v_fmac_f16_e32 v6, 0x3a79, v4
	v_add_f16_e32 v2, v17, v38
	v_fmac_f16_e32 v10, 0x3b9c, v1
	v_fmac_f16_e32 v36, 0x34f2, v35
	v_fmac_f16_e32 v16, 0xbb9c, v9
	v_fmac_f16_e32 v26, 0x34f2, v21
	v_add_f16_e32 v3, v28, v5
	v_add_f16_e32 v1, v0, v10
	;; [unrolled: 1-line block ×3, first 2 shown]
	v_sub_f16_e32 v5, v28, v5
	v_sub_f16_e32 v6, v29, v6
	;; [unrolled: 1-line block ×3, first 2 shown]
	v_pack_b32_f16 v2, v1, v2
	v_add_f16_e32 v1, v8, v39
	v_sub_f16_e32 v8, v8, v39
	v_fmac_f16_e32 v16, 0xb8b4, v7
	v_mul_f16_e32 v9, 0xba79, v26
	v_mul_f16_e32 v11, 0xba79, v22
	v_pack_b32_f16 v4, v3, v4
	v_add_f16_e32 v3, v12, v31
	v_add_f16_e32 v32, v19, v25
	v_pack_b32_f16 v5, v5, v6
	v_pack_b32_f16 v6, v8, v28
	v_sub_f16_e32 v8, v12, v31
	v_sub_f16_e32 v12, v19, v25
	v_add_co_u32 v25, null, 0xc0, v120
	v_fmac_f16_e32 v16, 0x34f2, v13
	v_fmac_f16_e32 v9, 0x38b4, v22
	;; [unrolled: 1-line block ×3, first 2 shown]
	v_add_f16_e32 v35, v33, v36
	v_pack_b32_f16 v8, v8, v12
	v_mul_u32_u24_e32 v12, 10, v25
	v_add_f16_e32 v7, v16, v9
	v_add_f16_e32 v13, v18, v11
	v_pack_b32_f16 v1, v1, v35
	v_pack_b32_f16 v3, v3, v32
	v_lshlrev_b32_e32 v147, 2, v12
	v_sub_f16_e32 v0, v0, v10
	v_pack_b32_f16 v7, v7, v13
	ds_store_2addr_b64 v147, v[3:4], v[1:2] offset1:1
	ds_store_2addr_b64 v147, v[7:8], v[5:6] offset0:2 offset1:3
	v_sub_f16_e32 v1, v16, v9
	v_sub_f16_e32 v2, v18, v11
	;; [unrolled: 1-line block ×3, first 2 shown]
	v_and_b32_e32 v29, 0xff, v24
	s_delay_alu instid0(VALU_DEP_3) | instskip(NEXT) | instid1(VALU_DEP_3)
	v_pack_b32_f16 v1, v1, v2
	v_pack_b32_f16 v0, v0, v3
	ds_store_b64 v147, v[0:1] offset:32
	v_mul_u32_u24_e32 v0, 0xcccd, v60
	s_waitcnt lgkmcnt(0)
	s_barrier
	buffer_gl0_inv
	v_lshrrev_b32_e32 v97, 19, v0
	s_delay_alu instid0(VALU_DEP_1) | instskip(NEXT) | instid1(VALU_DEP_1)
	v_mul_lo_u16 v0, v97, 10
	v_sub_nc_u16 v26, v60, v0
	s_delay_alu instid0(VALU_DEP_1) | instskip(NEXT) | instid1(VALU_DEP_1)
	v_mul_lo_u16 v0, v26, 20
	v_and_b32_e32 v0, 0xffff, v0
	s_delay_alu instid0(VALU_DEP_1) | instskip(NEXT) | instid1(VALU_DEP_1)
	v_add_co_u32 v0, s4, s6, v0
	v_add_co_ci_u32_e64 v1, null, s7, 0, s4
	s_clause 0x1
	global_load_b32 v140, v[0:1], off offset:16
	global_load_b128 v[230:233], v[0:1], off
	ds_load_2addr_b32 v[12:13], v124 offset0:64 offset1:160
	ds_load_2addr_b32 v[14:15], v178 offset0:128 offset1:224
	ds_load_2addr_b32 v[16:17], v135 offset1:96
	ds_load_2addr_b32 v[7:8], v123 offset0:64 offset1:160
	ds_load_2addr_b32 v[9:10], v118 offset1:96
	v_add_co_u32 v41, s4, 0x120, v120
	s_delay_alu instid0(VALU_DEP_1) | instskip(NEXT) | instid1(VALU_DEP_2)
	v_add_co_ci_u32_e64 v94, null, 0, 0, s4
	v_and_b32_e32 v96, 0xffff, v41
	s_waitcnt lgkmcnt(4)
	v_lshrrev_b32_e32 v0, 16, v13
	s_waitcnt lgkmcnt(0)
	v_lshrrev_b32_e32 v11, 16, v10
	s_waitcnt vmcnt(1)
	v_lshrrev_b32_e32 v3, 16, v140
	s_waitcnt vmcnt(0)
	v_lshrrev_b32_e32 v2, 16, v232
	v_lshrrev_b32_e32 v4, 16, v230
	s_delay_alu instid0(VALU_DEP_3) | instskip(NEXT) | instid1(VALU_DEP_3)
	v_mul_f16_e32 v28, v15, v3
	v_mul_f16_e32 v1, v13, v2
	s_delay_alu instid0(VALU_DEP_3) | instskip(NEXT) | instid1(VALU_DEP_2)
	v_mul_f16_e32 v27, v17, v4
	v_fmac_f16_e64 v1, v0, v232
	v_mul_f16_e32 v0, v0, v2
	v_lshrrev_b32_e32 v2, 16, v15
	s_delay_alu instid0(VALU_DEP_1) | instskip(SKIP_2) | instid1(VALU_DEP_2)
	v_fmac_f16_e64 v28, v2, v140
	v_mul_f16_e32 v2, v2, v3
	v_lshrrev_b32_e32 v3, 16, v17
	v_fma_f16 v15, v15, v140, -v2
	s_delay_alu instid0(VALU_DEP_2) | instskip(SKIP_3) | instid1(VALU_DEP_4)
	v_fmac_f16_e64 v27, v3, v230
	v_mul_f16_e32 v3, v3, v4
	v_fma_f16 v4, v13, v232, -v0
	v_lshrrev_b32_e32 v2, 16, v233
	v_add_f16_e32 v42, v27, v1
	s_delay_alu instid0(VALU_DEP_4) | instskip(NEXT) | instid1(VALU_DEP_4)
	v_fma_f16 v13, v17, v230, -v3
	v_add_f16_e32 v0, v4, v15
	s_delay_alu instid0(VALU_DEP_4) | instskip(SKIP_4) | instid1(VALU_DEP_1)
	v_mul_f16_e32 v53, v9, v2
	ds_load_2addr_b32 v[17:18], v107 offset0:128 offset1:224
	v_add_f16_e32 v30, v13, v4
	v_fmac_f16_e32 v13, -0.5, v0
	v_add_f16_e32 v0, v1, v28
	v_fmac_f16_e32 v27, -0.5, v0
	v_sub_f16_e32 v0, v1, v28
	v_lshrrev_b32_e32 v1, 16, v231
	s_delay_alu instid0(VALU_DEP_2) | instskip(SKIP_2) | instid1(VALU_DEP_4)
	v_fmamk_f16 v49, v0, 0x3aee, v13
	v_fmac_f16_e32 v13, 0xbaee, v0
	v_lshrrev_b32_e32 v0, 16, v7
	v_mul_f16_e32 v51, v7, v1
	s_waitcnt lgkmcnt(0)
	v_lshrrev_b32_e32 v31, 16, v17
	v_lshrrev_b32_e32 v3, 16, v18
	s_delay_alu instid0(VALU_DEP_3) | instskip(SKIP_2) | instid1(VALU_DEP_2)
	v_fmac_f16_e64 v51, v0, v231
	v_mul_f16_e32 v0, v0, v1
	v_lshrrev_b32_e32 v1, 16, v9
	v_fma_f16 v52, v7, v231, -v0
	s_delay_alu instid0(VALU_DEP_2) | instskip(SKIP_2) | instid1(VALU_DEP_4)
	v_fmac_f16_e64 v53, v1, v233
	v_mul_f16_e32 v1, v1, v2
	v_mul_f16_e32 v2, -0.5, v13
	v_add_f16_e32 v0, v17, v52
	s_delay_alu instid0(VALU_DEP_3) | instskip(NEXT) | instid1(VALU_DEP_1)
	v_fma_f16 v54, v9, v233, -v1
	v_add_f16_e32 v1, v52, v54
	s_delay_alu instid0(VALU_DEP_3) | instskip(NEXT) | instid1(VALU_DEP_2)
	v_add_f16_e32 v0, v0, v54
	v_fmac_f16_e32 v17, -0.5, v1
	v_sub_f16_e32 v1, v4, v15
	s_delay_alu instid0(VALU_DEP_1) | instskip(SKIP_2) | instid1(VALU_DEP_2)
	v_fmamk_f16 v58, v1, 0xbaee, v27
	v_fmac_f16_e32 v27, 0x3aee, v1
	v_sub_f16_e32 v1, v51, v53
	v_fmac_f16_e32 v2, 0x3aee, v27
	s_delay_alu instid0(VALU_DEP_2) | instskip(SKIP_2) | instid1(VALU_DEP_2)
	v_fmamk_f16 v50, v1, 0x3aee, v17
	v_fmac_f16_e32 v17, 0xbaee, v1
	v_and_b32_e32 v1, 0xff, v46
	v_sub_f16_e32 v65, v17, v2
	s_delay_alu instid0(VALU_DEP_2) | instskip(NEXT) | instid1(VALU_DEP_1)
	v_mul_lo_u16 v1, 0xcd, v1
	v_lshrrev_b16 v6, 11, v1
	s_delay_alu instid0(VALU_DEP_1) | instskip(SKIP_1) | instid1(VALU_DEP_2)
	v_mul_lo_u16 v1, v6, 10
	v_and_b32_e32 v6, 0xffff, v6
	v_sub_nc_u16 v1, v46, v1
	s_delay_alu instid0(VALU_DEP_2) | instskip(NEXT) | instid1(VALU_DEP_2)
	v_mul_u32_u24_e32 v6, 60, v6
	v_and_b32_e32 v7, 0xff, v1
	s_delay_alu instid0(VALU_DEP_1)
	v_mad_u64_u32 v[4:5], null, v7, 20, s[6:7]
	s_clause 0x1
	global_load_b32 v152, v[4:5], off offset:16
	global_load_b128 v[128:131], v[4:5], off
	v_add_lshl_u32 v148, v6, v7, 2
	s_waitcnt vmcnt(0)
	v_lshrrev_b32_e32 v4, 16, v128
	v_lshrrev_b32_e32 v5, 16, v130
	v_lshrrev_b32_e32 v9, 16, v129
	v_lshrrev_b32_e32 v23, 16, v131
	s_delay_alu instid0(VALU_DEP_4) | instskip(SKIP_1) | instid1(VALU_DEP_2)
	v_mul_f16_e32 v1, v3, v4
	v_mul_f16_e32 v57, v18, v4
	v_fma_f16 v40, v18, v128, -v1
	v_add_f16_e32 v1, v17, v2
	v_lshrrev_b32_e32 v2, 16, v8
	s_delay_alu instid0(VALU_DEP_4) | instskip(SKIP_3) | instid1(VALU_DEP_2)
	v_fmac_f16_e64 v57, v3, v128
	ds_load_2addr_b32 v[17:18], v98 offset0:64 offset1:160
	v_mul_f16_e32 v3, v2, v5
	v_mul_f16_e32 v5, v8, v5
	v_fma_f16 v4, v8, v130, -v3
	v_lshrrev_b32_e32 v8, 16, v152
	s_delay_alu instid0(VALU_DEP_3) | instskip(NEXT) | instid1(VALU_DEP_2)
	v_fmac_f16_e64 v5, v2, v130
	v_mul_f16_e32 v3, v11, v8
	s_delay_alu instid0(VALU_DEP_1)
	v_fma_f16 v34, v10, v152, -v3
	v_mul_lo_u16 v3, 0xcd, v29
	v_mul_f16_e32 v10, v10, v8
	s_waitcnt lgkmcnt(0)
	v_lshrrev_b32_e32 v8, 16, v17
	v_mul_f16_e32 v35, v17, v9
	v_lshrrev_b32_e32 v19, 16, v18
	v_lshrrev_b16 v55, 11, v3
	v_fmac_f16_e64 v10, v11, v152
	v_sub_f16_e32 v88, v4, v34
	v_fmac_f16_e64 v35, v8, v129
	v_mul_f16_e32 v8, v8, v9
	v_mul_lo_u16 v3, v55, 10
	v_sub_f16_e32 v89, v5, v10
	v_and_b32_e32 v55, 0xffff, v55
	s_delay_alu instid0(VALU_DEP_4) | instskip(NEXT) | instid1(VALU_DEP_4)
	v_fma_f16 v36, v17, v129, -v8
	v_sub_nc_u16 v3, v24, v3
	s_delay_alu instid0(VALU_DEP_3) | instskip(NEXT) | instid1(VALU_DEP_2)
	v_mul_u32_u24_e32 v55, 60, v55
	v_and_b32_e32 v56, 0xff, v3
	s_delay_alu instid0(VALU_DEP_1)
	v_mad_u64_u32 v[8:9], null, v56, 20, s[6:7]
	s_clause 0x1
	global_load_b32 v144, v[8:9], off offset:16
	global_load_b128 v[84:87], v[8:9], off
	ds_load_2addr_b32 v[32:33], v125 offset1:96
	v_add_lshl_u32 v206, v55, v56, 2
	s_waitcnt lgkmcnt(0)
	v_lshrrev_b32_e32 v59, 16, v33
	v_lshrrev_b32_e32 v77, 16, v32
	s_waitcnt vmcnt(0)
	v_lshrrev_b32_e32 v8, 16, v85
	v_lshrrev_b32_e32 v22, 16, v87
	s_delay_alu instid0(VALU_DEP_2) | instskip(SKIP_1) | instid1(VALU_DEP_2)
	v_mul_f16_e32 v3, v19, v8
	v_mul_f16_e32 v64, v18, v8
	v_fma_f16 v3, v18, v85, -v3
	ds_load_2addr_b32 v[17:18], v119 offset0:128 offset1:224
	v_fmac_f16_e32 v64, v19, v85
	v_lshrrev_b32_e32 v19, 16, v86
	v_add_f16_e32 v68, v33, v3
	s_waitcnt lgkmcnt(0)
	v_lshrrev_b32_e32 v8, 16, v17
	v_lshrrev_b32_e32 v20, 16, v18
	v_mul_f16_e32 v37, v17, v23
	v_mul_f16_e32 v67, v18, v22
	s_delay_alu instid0(VALU_DEP_4) | instskip(NEXT) | instid1(VALU_DEP_4)
	v_mul_f16_e32 v9, v8, v23
	v_mul_f16_e32 v21, v20, v22
	s_delay_alu instid0(VALU_DEP_4) | instskip(NEXT) | instid1(VALU_DEP_4)
	v_fmac_f16_e64 v37, v8, v131
	v_fmac_f16_e32 v67, v20, v87
	v_lshrrev_b32_e32 v22, 16, v144
	v_fma_f16 v9, v17, v131, -v9
	v_fma_f16 v66, v18, v87, -v21
	ds_load_2addr_b32 v[17:18], v95 offset1:96
	v_sub_f16_e32 v8, v64, v67
	v_lshrrev_b32_e32 v23, 16, v84
	v_sub_f16_e32 v81, v36, v9
	v_add_f16_e32 v2, v3, v66
	v_sub_f16_e32 v80, v35, v37
	v_sub_f16_e32 v3, v3, v66
	s_delay_alu instid0(VALU_DEP_3) | instskip(NEXT) | instid1(VALU_DEP_1)
	v_fmac_f16_e32 v33, -0.5, v2
	v_fmamk_f16 v2, v8, 0x3aee, v33
	v_fmac_f16_e32 v33, 0xbaee, v8
	s_waitcnt lgkmcnt(0)
	v_lshrrev_b32_e32 v8, 16, v17
	v_mul_f16_e32 v11, v17, v19
	s_delay_alu instid0(VALU_DEP_1)
	v_fmac_f16_e32 v11, v8, v86
	v_mul_f16_e32 v8, v8, v19
	ds_load_2addr_b32 v[19:20], v110 offset0:64 offset1:160
	v_fma_f16 v8, v17, v86, -v8
	s_waitcnt lgkmcnt(0)
	v_lshrrev_b32_e32 v21, 16, v19
	v_mul_f16_e32 v70, v19, v22
	s_delay_alu instid0(VALU_DEP_2) | instskip(NEXT) | instid1(VALU_DEP_2)
	v_mul_f16_e32 v38, v21, v22
	v_fmac_f16_e64 v70, v21, v144
	ds_load_2addr_b32 v[21:22], v136 offset0:64 offset1:160
	v_fma_f16 v71, v19, v144, -v38
	s_delay_alu instid0(VALU_DEP_1) | instskip(SKIP_3) | instid1(VALU_DEP_1)
	v_add_f16_e32 v19, v8, v71
	s_waitcnt lgkmcnt(0)
	v_lshrrev_b32_e32 v39, 16, v21
	v_mul_f16_e32 v69, v21, v23
	v_fmac_f16_e32 v69, v39, v84
	v_mul_f16_e32 v39, v39, v23
	v_mov_b32_e32 v23, v150
	s_delay_alu instid0(VALU_DEP_3) | instskip(NEXT) | instid1(VALU_DEP_3)
	v_add_f16_e32 v75, v69, v11
	v_fma_f16 v17, v21, v84, -v39
	s_delay_alu instid0(VALU_DEP_1) | instskip(SKIP_3) | instid1(VALU_DEP_2)
	v_add_f16_e32 v73, v17, v8
	v_fmac_f16_e32 v17, -0.5, v19
	v_sub_f16_e32 v19, v11, v70
	v_sub_f16_e32 v8, v8, v71
	v_fmamk_f16 v72, v19, 0x3aee, v17
	v_fmac_f16_e32 v17, 0xbaee, v19
	v_add_f16_e32 v19, v11, v70
	v_add_f16_e32 v11, v36, v9
	s_delay_alu instid0(VALU_DEP_2) | instskip(NEXT) | instid1(VALU_DEP_2)
	v_fmac_f16_e32 v69, -0.5, v19
	v_fma_f16 v76, -0.5, v11, v32
	v_add_f16_e32 v11, v77, v35
	s_delay_alu instid0(VALU_DEP_3) | instskip(SKIP_2) | instid1(VALU_DEP_4)
	v_fmamk_f16 v74, v8, 0xbaee, v69
	v_fmac_f16_e32 v69, 0x3aee, v8
	v_mul_f16_e32 v8, -0.5, v17
	v_add_f16_e32 v78, v11, v37
	v_add_f16_e32 v11, v4, v34
	v_fmamk_f16 v91, v80, 0x3aee, v76
	v_fmac_f16_e32 v76, 0xbaee, v80
	v_fmac_f16_e32 v8, 0x3aee, v69
	s_delay_alu instid0(VALU_DEP_1) | instskip(SKIP_3) | instid1(VALU_DEP_2)
	v_add_f16_e32 v21, v33, v8
	v_sub_f16_e32 v19, v33, v8
	v_add_f16_e32 v8, v32, v36
	v_add_f16_e32 v32, v35, v37
	;; [unrolled: 1-line block ×5, first 2 shown]
	s_delay_alu instid0(VALU_DEP_4) | instskip(NEXT) | instid1(VALU_DEP_3)
	v_fmac_f16_e32 v77, -0.5, v32
	v_fmac_f16_e32 v57, -0.5, v8
	v_add_f16_e32 v8, v40, v4
	v_fmac_f16_e32 v40, -0.5, v11
	v_add_f16_e32 v5, v9, v10
	v_fmamk_f16 v90, v81, 0xbaee, v77
	v_fmac_f16_e32 v77, 0x3aee, v81
	v_add_f16_e32 v4, v8, v34
	v_fmamk_f16 v8, v88, 0xbaee, v57
	v_fmamk_f16 v9, v89, 0x3aee, v40
	v_add_f16_e32 v7, v78, v5
	v_fmac_f16_e32 v40, 0xbaee, v89
	v_add_f16_e32 v6, v79, v4
	v_mul_f16_e32 v82, 0x3aee, v8
	v_mul_f16_e32 v83, 0xbaee, v9
	v_fmac_f16_e32 v57, 0x3aee, v88
	v_sub_f16_e32 v4, v79, v4
	v_pack_b32_f16 v92, v6, v7
	v_fmac_f16_e32 v82, 0.5, v9
	v_fmac_f16_e32 v83, 0.5, v8
	v_sub_f16_e32 v5, v78, v5
	s_delay_alu instid0(VALU_DEP_3) | instskip(NEXT) | instid1(VALU_DEP_3)
	v_add_f16_e32 v6, v91, v82
	v_add_f16_e32 v7, v90, v83
	s_delay_alu instid0(VALU_DEP_3) | instskip(NEXT) | instid1(VALU_DEP_2)
	v_pack_b32_f16 v4, v4, v5
	v_pack_b32_f16 v93, v6, v7
	v_and_b32_e32 v7, 0xffff, v25
	v_mul_u32_u24_e32 v6, 0xcccd, v96
	s_delay_alu instid0(VALU_DEP_2) | instskip(NEXT) | instid1(VALU_DEP_2)
	v_mul_u32_u24_e32 v8, 0xcccd, v7
	v_lshrrev_b32_e32 v6, 19, v6
	v_mul_u32_u24_e32 v7, 0x8889, v7
	s_delay_alu instid0(VALU_DEP_3) | instskip(NEXT) | instid1(VALU_DEP_3)
	v_lshrrev_b32_e32 v8, 19, v8
	v_mul_lo_u16 v9, v6, 10
	s_delay_alu instid0(VALU_DEP_3) | instskip(NEXT) | instid1(VALU_DEP_3)
	v_lshrrev_b32_e32 v7, 21, v7
	v_mul_lo_u16 v10, v8, 10
	s_delay_alu instid0(VALU_DEP_3) | instskip(NEXT) | instid1(VALU_DEP_2)
	v_sub_nc_u16 v9, v41, v9
	v_sub_nc_u16 v10, v25, v10
	s_delay_alu instid0(VALU_DEP_2) | instskip(SKIP_1) | instid1(VALU_DEP_3)
	v_mul_lo_u16 v11, v9, 20
	v_mad_u16 v6, v6, 60, v9
	v_mul_lo_u16 v32, v10, 20
	s_delay_alu instid0(VALU_DEP_3) | instskip(SKIP_1) | instid1(VALU_DEP_4)
	v_and_b32_e32 v11, 0xffff, v11
	v_mad_u16 v8, v8, 60, v10
	v_and_b32_e32 v6, 0xffff, v6
	s_delay_alu instid0(VALU_DEP_4) | instskip(NEXT) | instid1(VALU_DEP_4)
	v_and_b32_e32 v34, 0xffff, v32
	v_add_co_u32 v32, s4, s6, v11
	s_delay_alu instid0(VALU_DEP_1) | instskip(NEXT) | instid1(VALU_DEP_3)
	v_add_co_ci_u32_e64 v33, null, s7, 0, s4
	v_add_co_u32 v34, s4, s6, v34
	s_delay_alu instid0(VALU_DEP_1)
	v_add_co_ci_u32_e64 v35, null, s7, 0, s4
	s_clause 0x3
	global_load_b32 v193, v[32:33], off offset:16
	global_load_b32 v202, v[34:35], off offset:16
	global_load_b128 v[36:39], v[34:35], off
	global_load_b128 v[32:35], v[32:33], off
	v_mul_f16_e32 v11, -0.5, v40
	ds_load_2addr_b32 v[99:100], v137 offset0:64 offset1:160
	ds_load_2addr_b32 v[111:112], v134 offset0:128 offset1:224
	;; [unrolled: 1-line block ×3, first 2 shown]
	s_waitcnt vmcnt(0) lgkmcnt(0)
	s_barrier
	buffer_gl0_inv
	v_fmac_f16_e32 v11, 0x3aee, v57
	v_mul_f16_e32 v57, -0.5, v57
	ds_store_2addr_b32 v148, v92, v93 offset1:10
	v_and_b32_e32 v8, 0xffff, v8
	v_lshlrev_b32_e32 v180, 2, v6
	v_sub_f16_e32 v5, v76, v11
	v_fmac_f16_e32 v57, 0xbaee, v40
	v_add_f16_e32 v40, v76, v11
	v_sub_f16_e32 v11, v90, v83
	scratch_store_b32 off, v60, off offset:252 ; 4-byte Folded Spill
	v_add_f16_e32 v78, v77, v57
	v_lshrrev_b32_e32 v80, 16, v99
	s_delay_alu instid0(VALU_DEP_2) | instskip(SKIP_4) | instid1(VALU_DEP_3)
	v_pack_b32_f16 v40, v40, v78
	ds_store_2addr_b32 v148, v40, v4 offset0:20 offset1:30
	v_sub_f16_e32 v4, v91, v82
	v_sub_f16_e32 v40, v77, v57
	v_mul_f16_e32 v57, 0x3aee, v74
	v_pack_b32_f16 v4, v4, v11
	s_delay_alu instid0(VALU_DEP_3)
	v_pack_b32_f16 v5, v5, v40
	v_add_f16_e32 v11, v73, v71
	v_add_f16_e32 v40, v75, v70
	v_fmac_f16_e32 v57, 0.5, v72
	ds_store_2addr_b32 v148, v4, v5 offset0:40 offset1:50
	v_add_f16_e32 v4, v59, v64
	v_add_f16_e32 v5, v64, v67
	v_mul_f16_e32 v64, 0xbaee, v72
	v_lshrrev_b32_e32 v72, 16, v14
	s_delay_alu instid0(VALU_DEP_4) | instskip(NEXT) | instid1(VALU_DEP_4)
	v_add_f16_e32 v4, v4, v67
	v_fmac_f16_e32 v59, -0.5, v5
	v_add_f16_e32 v5, v68, v66
	v_fmac_f16_e32 v64, 0.5, v74
	v_add_f16_e32 v66, v2, v57
	v_add_f16_e32 v56, v4, v40
	v_sub_f16_e32 v4, v4, v40
	v_add_f16_e32 v55, v5, v11
	v_sub_f16_e32 v5, v5, v11
	v_sub_f16_e32 v2, v2, v57
	s_delay_alu instid0(VALU_DEP_3)
	v_pack_b32_f16 v55, v55, v56
	v_fmamk_f16 v56, v3, 0xbaee, v59
	v_fmac_f16_e32 v59, 0x3aee, v3
	v_mul_f16_e32 v3, -0.5, v69
	v_pack_b32_f16 v4, v5, v4
	v_lshrrev_b32_e32 v5, 16, v18
	v_add_f16_e32 v67, v56, v64
	v_lshrrev_b32_e32 v69, 16, v115
	v_fmac_f16_e32 v3, 0xbaee, v17
	s_delay_alu instid0(VALU_DEP_3) | instskip(SKIP_1) | instid1(VALU_DEP_3)
	v_pack_b32_f16 v66, v66, v67
	v_lshrrev_b32_e32 v67, 16, v114
	v_add_f16_e32 v11, v59, v3
	v_sub_f16_e32 v3, v59, v3
	v_lshrrev_b32_e32 v59, 16, v12
	ds_store_2addr_b32 v206, v55, v66 offset1:10
	v_pack_b32_f16 v11, v21, v11
	v_pack_b32_f16 v3, v19, v3
	ds_store_2addr_b32 v206, v11, v4 offset0:20 offset1:30
	v_sub_f16_e32 v4, v56, v64
	v_lshlrev_b32_e32 v64, 2, v8
	s_delay_alu instid0(VALU_DEP_2)
	v_pack_b32_f16 v2, v2, v4
	ds_store_2addr_b32 v206, v2, v3 offset0:40 offset1:50
	v_lshrrev_b32_e32 v2, 16, v22
	v_lshrrev_b32_e32 v208, 16, v193
	;; [unrolled: 1-line block ×8, first 2 shown]
	v_mul_f16_e32 v3, v2, v82
	v_mul_f16_e32 v4, v22, v82
	;; [unrolled: 1-line block ×5, first 2 shown]
	v_fma_f16 v3, v22, v36, -v3
	v_lshrrev_b32_e32 v22, 16, v112
	v_fma_f16 v11, v18, v38, -v11
	v_lshrrev_b32_e32 v18, 16, v20
	v_mul_f16_e32 v57, v112, v76
	v_fmac_f16_e32 v17, v5, v38
	v_mul_f16_e32 v40, v22, v76
	v_fmac_f16_e32 v4, v2, v36
	v_mul_f16_e64 v19, v18, v219
	v_fmac_f16_e32 v57, v22, v33
	v_lshrrev_b32_e32 v2, 16, v16
	v_fma_f16 v56, v112, v33, -v40
	v_mul_f16_e32 v40, v59, v83
	v_fma_f16 v19, v20, v202, -v19
	v_mul_f16_e64 v20, v20, v219
	v_lshrrev_b32_e32 v132, 16, v32
	v_lshrrev_b32_e32 v93, 16, v35
	v_fma_f16 v66, v12, v34, -v40
	v_lshrrev_b32_e32 v40, 16, v39
	v_fmac_f16_e64 v20, v18, v202
	v_lshrrev_b32_e32 v18, 16, v111
	v_mul_f16_e64 v5, v2, v132
	v_mul_f16_e32 v70, v69, v93
	v_mul_f16_e32 v68, v114, v40
	;; [unrolled: 1-line block ×3, first 2 shown]
	v_fmac_f16_e32 v21, v18, v37
	v_mul_f16_e32 v18, v18, v55
	v_fma_f16 v5, v16, v32, -v5
	v_fmac_f16_e32 v68, v67, v39
	v_mul_f16_e32 v67, v67, v40
	v_add_f16_e32 v81, v80, v21
	v_fma_f16 v18, v111, v37, -v18
	v_mul_f16_e64 v16, v16, v132
	v_add_f16_e32 v88, v21, v68
	v_fma_f16 v67, v114, v39, -v67
	v_sub_f16_e32 v21, v21, v68
	v_add_f16_e32 v68, v81, v68
	v_fma_f16 v70, v115, v35, -v70
	v_fmac_f16_e32 v80, -0.5, v88
	v_add_f16_e32 v22, v18, v67
	v_add_f16_e32 v88, v11, v19
	v_mul_f16_e32 v12, v12, v83
	v_mul_f16_e64 v73, v72, v208
	v_fmac_f16_e32 v16, v2, v32
	v_fma_f16 v78, -0.5, v22, v99
	v_add_f16_e32 v22, v99, v18
	v_sub_f16_e32 v18, v18, v67
	v_fmac_f16_e32 v71, v69, v35
	v_add_f16_e32 v2, v56, v70
	v_fmamk_f16 v89, v21, 0x3aee, v78
	v_add_f16_e32 v81, v22, v67
	v_add_f16_e32 v22, v17, v20
	;; [unrolled: 1-line block ×3, first 2 shown]
	v_sub_f16_e32 v17, v17, v20
	v_fmamk_f16 v90, v18, 0xbaee, v80
	v_fmac_f16_e32 v78, 0xbaee, v21
	v_fmac_f16_e32 v4, -0.5, v22
	v_add_f16_e32 v22, v3, v11
	v_sub_f16_e32 v11, v11, v19
	v_fmac_f16_e32 v3, -0.5, v88
	v_add_f16_e32 v20, v67, v20
	v_fmac_f16_e32 v80, 0x3aee, v18
	v_add_f16_e32 v19, v22, v19
	v_fmamk_f16 v22, v11, 0xbaee, v4
	v_fmamk_f16 v67, v17, 0x3aee, v3
	v_fmac_f16_e32 v3, 0xbaee, v17
	v_fmac_f16_e32 v4, 0x3aee, v11
	v_add_f16_e32 v10, v81, v19
	v_mul_f16_e32 v88, 0x3aee, v22
	v_fma_f16 v73, v14, v193, -v73
	v_mul_f16_e32 v8, -0.5, v3
	v_mul_f16_e64 v14, v14, v208
	v_fmac_f16_e32 v12, v59, v34
	v_fmac_f16_e32 v88, 0.5, v67
	v_mul_f16_e32 v67, 0xbaee, v67
	v_fmac_f16_e32 v8, 0x3aee, v4
	v_mul_f16_e32 v4, -0.5, v4
	v_lshrrev_b32_e32 v59, 16, v100
	v_add_f16_e32 v69, v100, v56
	v_fmac_f16_e32 v67, 0.5, v22
	v_add_f16_e32 v22, v68, v20
	v_fmac_f16_e32 v4, 0xbaee, v3
	v_fmac_f16_e32 v100, -0.5, v2
	v_sub_f16_e32 v2, v57, v71
	v_add_f16_e32 v91, v90, v67
	v_pack_b32_f16 v10, v10, v22
	v_add_f16_e32 v22, v89, v88
	v_sub_f16_e32 v3, v81, v19
	v_add_f16_e32 v11, v78, v8
	v_add_f16_e32 v17, v80, v4
	v_fmac_f16_e64 v14, v72, v193
	v_pack_b32_f16 v91, v22, v91
	v_fmamk_f16 v72, v2, 0x3aee, v100
	v_fmac_f16_e32 v100, 0xbaee, v2
	v_add_f16_e32 v2, v66, v73
	v_pack_b32_f16 v11, v11, v17
	ds_store_2addr_b32 v64, v10, v91 offset1:10
	v_sub_f16_e32 v10, v68, v20
	v_add_f16_e32 v75, v5, v66
	v_fmac_f16_e32 v5, -0.5, v2
	v_sub_f16_e32 v2, v12, v14
	v_sub_f16_e32 v8, v78, v8
	v_pack_b32_f16 v3, v3, v10
	v_sub_f16_e32 v10, v90, v67
	v_sub_f16_e32 v4, v80, v4
	v_fmamk_f16 v77, v2, 0x3aee, v5
	v_fmac_f16_e32 v5, 0xbaee, v2
	ds_store_2addr_b32 v64, v11, v3 offset0:20 offset1:30
	v_sub_f16_e32 v3, v89, v88
	v_add_f16_e32 v2, v12, v14
	v_pack_b32_f16 v4, v8, v4
	v_add_f16_e32 v12, v16, v12
	v_sub_f16_e32 v8, v56, v70
	v_pack_b32_f16 v3, v3, v10
	v_fmac_f16_e32 v16, -0.5, v2
	v_sub_f16_e32 v2, v66, v73
	v_add_f16_e32 v10, v75, v73
	v_add_f16_e32 v11, v12, v14
	ds_store_2addr_b32 v64, v3, v4 offset0:40 offset1:50
	v_add_f16_e32 v3, v59, v57
	v_add_f16_e32 v4, v57, v71
	v_fmamk_f16 v66, v2, 0xbaee, v16
	v_fmac_f16_e32 v16, 0x3aee, v2
	v_mul_f16_e32 v2, -0.5, v5
	v_add_f16_e32 v3, v3, v71
	v_fmac_f16_e32 v59, -0.5, v4
	v_add_f16_e32 v4, v69, v70
	v_mul_f16_e32 v6, -0.5, v16
	v_fmac_f16_e32 v2, 0x3aee, v16
	v_add_f16_e32 v17, v3, v11
	v_mul_f16_e32 v12, 0x3aee, v66
	v_add_f16_e32 v9, v4, v10
	v_fmac_f16_e32 v6, 0xbaee, v5
	v_add_f16_e32 v79, v100, v2
	v_mul_f16_e32 v14, 0xbaee, v77
	v_sub_f16_e32 v4, v4, v10
	v_pack_b32_f16 v9, v9, v17
	v_fmamk_f16 v17, v8, 0xbaee, v59
	v_fmac_f16_e32 v59, 0x3aee, v8
	v_sub_f16_e32 v3, v3, v11
	v_fmac_f16_e32 v12, 0.5, v77
	v_fmac_f16_e32 v14, 0.5, v66
	v_sub_f16_e32 v2, v100, v2
	v_add_f16_e32 v5, v59, v6
	v_pack_b32_f16 v3, v4, v3
	v_add_f16_e32 v18, v72, v12
	v_sub_f16_e32 v4, v17, v14
	v_add_f16_e32 v19, v17, v14
	v_pack_b32_f16 v5, v79, v5
	v_mul_f16_e32 v8, 0xbaee, v49
	s_delay_alu instid0(VALU_DEP_3)
	v_pack_b32_f16 v18, v18, v19
	ds_store_2addr_b32 v180, v5, v3 offset0:20 offset1:30
	v_sub_f16_e32 v3, v72, v12
	v_sub_f16_e32 v5, v59, v6
	v_mul_f16_e32 v6, 0x3aee, v58
	ds_store_2addr_b32 v180, v9, v18 offset1:10
	v_mad_u16 v9, v97, 60, v26
	v_pack_b32_f16 v3, v3, v4
	v_pack_b32_f16 v2, v2, v5
	v_add_f16_e32 v4, v30, v15
	v_add_f16_e32 v5, v42, v28
	v_and_b32_e32 v9, 0xffff, v9
	v_fmac_f16_e32 v6, 0.5, v49
	ds_store_2addr_b32 v180, v3, v2 offset0:40 offset1:50
	v_add_f16_e32 v2, v31, v51
	v_add_f16_e32 v3, v51, v53
	;; [unrolled: 1-line block ×3, first 2 shown]
	v_sub_f16_e32 v0, v0, v4
	v_fmac_f16_e32 v8, 0.5, v58
	v_add_f16_e32 v2, v2, v53
	v_fmac_f16_e32 v31, -0.5, v3
	v_sub_f16_e32 v3, v52, v54
	v_lshlrev_b32_e32 v222, 2, v9
	v_add_f16_e32 v12, v50, v6
	v_add_f16_e32 v11, v2, v5
	v_sub_f16_e32 v2, v2, v5
	s_delay_alu instid0(VALU_DEP_2) | instskip(SKIP_4) | instid1(VALU_DEP_4)
	v_pack_b32_f16 v10, v10, v11
	v_fmamk_f16 v11, v3, 0xbaee, v31
	v_fmac_f16_e32 v31, 0x3aee, v3
	v_mul_f16_e32 v3, -0.5, v27
	v_pack_b32_f16 v0, v0, v2
	v_add_f16_e32 v14, v11, v8
	s_delay_alu instid0(VALU_DEP_3) | instskip(NEXT) | instid1(VALU_DEP_2)
	v_fmac_f16_e32 v3, 0xbaee, v13
	v_pack_b32_f16 v12, v12, v14
	s_delay_alu instid0(VALU_DEP_2)
	v_add_f16_e32 v4, v31, v3
	v_sub_f16_e32 v2, v31, v3
	ds_store_2addr_b32 v222, v10, v12 offset1:10
	v_pack_b32_f16 v1, v1, v4
	ds_store_2addr_b32 v222, v1, v0 offset0:20 offset1:30
	v_sub_f16_e32 v0, v50, v6
	v_sub_f16_e32 v1, v11, v8
	s_delay_alu instid0(VALU_DEP_1)
	v_pack_b32_f16 v0, v0, v1
	v_pack_b32_f16 v1, v65, v2
	ds_store_2addr_b32 v222, v0, v1 offset0:40 offset1:50
	v_subrev_nc_u32_e32 v0, 60, v120
	s_waitcnt lgkmcnt(0)
	s_waitcnt_vscnt null, 0x0
	s_barrier
	buffer_gl0_inv
	v_cndmask_b32_e32 v0, v0, v120, vcc_lo
	s_delay_alu instid0(VALU_DEP_1) | instskip(SKIP_1) | instid1(VALU_DEP_2)
	v_mul_i32_i24_e32 v1, 20, v0
	v_mul_hi_i32_i24_e32 v2, 20, v0
	v_add_co_u32 v16, vcc_lo, s6, v1
	v_mul_u32_u24_e32 v1, 0x8889, v60
	s_delay_alu instid0(VALU_DEP_3) | instskip(SKIP_1) | instid1(VALU_DEP_3)
	v_add_co_ci_u32_e32 v17, vcc_lo, s7, v2, vcc_lo
	v_cmp_lt_u16_e32 vcc_lo, 59, v46
	v_lshrrev_b32_e32 v1, 21, v1
	s_delay_alu instid0(VALU_DEP_1) | instskip(NEXT) | instid1(VALU_DEP_1)
	v_mul_lo_u16 v2, v1, 60
	v_sub_nc_u16 v2, v60, v2
	s_delay_alu instid0(VALU_DEP_1) | instskip(SKIP_1) | instid1(VALU_DEP_2)
	v_mul_lo_u16 v3, v2, 20
	v_mad_u16 v1, 0x168, v1, v2
	v_and_b32_e32 v3, 0xffff, v3
	s_delay_alu instid0(VALU_DEP_2) | instskip(NEXT) | instid1(VALU_DEP_2)
	v_and_b32_e32 v1, 0xffff, v1
	v_add_co_u32 v12, s4, s6, v3
	s_delay_alu instid0(VALU_DEP_1)
	v_add_co_ci_u32_e64 v13, null, s7, 0, s4
	s_clause 0x1
	global_load_b32 v162, v[12:13], off offset:216
	global_load_b128 v[239:242], v[12:13], off offset:200
	ds_load_2addr_b32 v[18:19], v123 offset0:64 offset1:160
	ds_load_2addr_b32 v[26:27], v118 offset1:96
	ds_load_2addr_b32 v[30:31], v107 offset0:128 offset1:224
	ds_load_2addr_b32 v[49:50], v124 offset0:64 offset1:160
	;; [unrolled: 1-line block ×3, first 2 shown]
	ds_load_2addr_b32 v[53:54], v135 offset1:96
	s_clause 0x1
	global_load_b32 v195, v[16:17], off offset:216
	global_load_b128 v[234:237], v[16:17], off offset:200
	v_lshlrev_b32_e32 v175, 2, v1
	s_waitcnt lgkmcnt(5)
	v_lshrrev_b32_e32 v3, 16, v18
	v_lshrrev_b32_e32 v28, 16, v19
	s_waitcnt lgkmcnt(3)
	v_lshrrev_b32_e32 v9, 16, v30
	s_waitcnt vmcnt(3)
	v_lshrrev_b32_e32 v15, 16, v162
	s_waitcnt vmcnt(2)
	v_lshrrev_b32_e32 v5, 16, v240
	v_lshrrev_b32_e32 v8, 16, v242
	v_lshrrev_b32_e32 v13, 16, v241
	v_lshrrev_b32_e32 v20, 16, v239
	s_waitcnt lgkmcnt(1)
	v_mul_f16_e32 v14, v52, v15
	v_mul_f16_e32 v4, v18, v5
	;; [unrolled: 1-line block ×4, first 2 shown]
	s_waitcnt vmcnt(0)
	v_lshrrev_b32_e32 v141, 16, v234
	v_lshrrev_b32_e32 v143, 16, v236
	v_fmac_f16_e64 v4, v3, v240
	v_mul_f16_e32 v3, v3, v5
	v_lshrrev_b32_e32 v5, 16, v26
	v_lshrrev_b32_e32 v17, 16, v195
	;; [unrolled: 1-line block ×4, first 2 shown]
	v_fma_f16 v3, v18, v240, -v3
	v_fmac_f16_e64 v6, v5, v242
	v_mul_f16_e32 v5, v5, v8
	s_waitcnt lgkmcnt(0)
	v_mul_f16_e32 v18, v54, v20
	v_mul_f16_e32 v72, v27, v17
	v_add_f16_e32 v10, v30, v3
	v_fma_f16 v5, v26, v242, -v5
	v_lshrrev_b32_e32 v26, 16, v31
	s_delay_alu instid0(VALU_DEP_2) | instskip(NEXT) | instid1(VALU_DEP_2)
	v_add_f16_e32 v8, v3, v5
	v_mul_f16_e64 v16, v26, v141
	v_sub_f16_e32 v3, v3, v5
	s_delay_alu instid0(VALU_DEP_3) | instskip(SKIP_1) | instid1(VALU_DEP_1)
	v_fmac_f16_e32 v30, -0.5, v8
	v_sub_f16_e32 v8, v4, v6
	v_fmamk_f16 v11, v8, 0x3aee, v30
	v_fmac_f16_e32 v30, 0xbaee, v8
	v_lshrrev_b32_e32 v8, 16, v50
	s_delay_alu instid0(VALU_DEP_1) | instskip(SKIP_2) | instid1(VALU_DEP_2)
	v_fmac_f16_e64 v12, v8, v241
	v_mul_f16_e32 v8, v8, v13
	v_lshrrev_b32_e32 v13, 16, v52
	v_fma_f16 v8, v50, v241, -v8
	s_delay_alu instid0(VALU_DEP_2) | instskip(SKIP_4) | instid1(VALU_DEP_4)
	v_fmac_f16_e64 v14, v13, v162
	v_mul_f16_e32 v13, v13, v15
	v_lshrrev_b32_e32 v15, 16, v54
	v_fma_f16 v50, v31, v234, -v16
	v_mul_f16_e64 v16, v28, v143
	v_fma_f16 v13, v52, v162, -v13
	s_delay_alu instid0(VALU_DEP_4) | instskip(SKIP_1) | instid1(VALU_DEP_3)
	v_fmac_f16_e64 v18, v15, v239
	v_mul_f16_e32 v15, v15, v20
	v_add_f16_e32 v20, v8, v13
	s_delay_alu instid0(VALU_DEP_2) | instskip(SKIP_2) | instid1(VALU_DEP_3)
	v_fma_f16 v15, v54, v239, -v15
	v_mul_f16_e64 v54, v31, v141
	v_lshrrev_b32_e32 v31, 16, v27
	v_add_f16_e32 v21, v15, v8
	v_fmac_f16_e32 v15, -0.5, v20
	v_sub_f16_e32 v20, v12, v14
	v_sub_f16_e32 v8, v8, v13
	v_fmac_f16_e64 v54, v26, v234
	v_fmac_f16_e64 v72, v31, v195
	s_delay_alu instid0(VALU_DEP_4) | instskip(SKIP_3) | instid1(VALU_DEP_2)
	v_fmamk_f16 v42, v20, 0x3aee, v15
	v_fmac_f16_e32 v15, 0xbaee, v20
	v_add_f16_e32 v20, v12, v14
	v_add_f16_e32 v12, v18, v12
	v_fmac_f16_e32 v18, -0.5, v20
	s_delay_alu instid0(VALU_DEP_1) | instskip(SKIP_2) | instid1(VALU_DEP_1)
	v_fmamk_f16 v20, v8, 0xbaee, v18
	v_fmac_f16_e32 v18, 0x3aee, v8
	v_mul_f16_e32 v8, -0.5, v15
	v_fmac_f16_e32 v8, 0x3aee, v18
	s_delay_alu instid0(VALU_DEP_1) | instskip(SKIP_4) | instid1(VALU_DEP_2)
	v_add_f16_e32 v52, v30, v8
	v_sub_f16_e32 v8, v30, v8
	v_fma_f16 v30, v19, v236, -v16
	v_mul_f16_e32 v16, v31, v17
	v_mul_f16_e64 v19, v19, v143
	v_fma_f16 v71, v27, v195, -v16
	ds_load_2addr_b32 v[26:27], v98 offset0:64 offset1:160
	v_mul_lo_u16 v16, 0x89, v29
	v_fmac_f16_e64 v19, v28, v236
	v_sub_f16_e32 v113, v30, v71
	s_delay_alu instid0(VALU_DEP_3) | instskip(NEXT) | instid1(VALU_DEP_1)
	v_lshrrev_b16 v73, 13, v16
	v_mul_lo_u16 v16, v73, 60
	s_delay_alu instid0(VALU_DEP_1) | instskip(SKIP_3) | instid1(VALU_DEP_3)
	v_sub_nc_u16 v16, v24, v16
	s_waitcnt lgkmcnt(0)
	v_lshrrev_b32_e32 v17, 16, v26
	v_mul_f16_e64 v29, v26, v190
	v_and_b32_e32 v75, 0xff, v16
	v_lshrrev_b32_e32 v24, 16, v27
	s_delay_alu instid0(VALU_DEP_3) | instskip(SKIP_1) | instid1(VALU_DEP_1)
	v_fmac_f16_e64 v29, v17, v235
	v_mul_f16_e64 v17, v17, v190
	v_fma_f16 v77, v26, v235, -v17
	v_mad_u64_u32 v[16:17], null, v75, 20, s[6:7]
	s_clause 0x1
	global_load_b32 v166, v[16:17], off offset:216
	global_load_b128 v[60:63], v[16:17], off offset:200
	ds_load_2addr_b32 v[69:70], v136 offset0:64 offset1:160
	s_waitcnt lgkmcnt(0)
	v_lshrrev_b32_e32 v79, 16, v69
	s_waitcnt vmcnt(1)
	v_lshrrev_b32_e32 v22, 16, v166
	s_waitcnt vmcnt(0)
	v_lshrrev_b32_e32 v173, 16, v61
	v_lshrrev_b32_e32 v146, 16, v63
	;; [unrolled: 1-line block ×4, first 2 shown]
	s_delay_alu instid0(VALU_DEP_4) | instskip(SKIP_1) | instid1(VALU_DEP_3)
	v_mul_f16_e64 v16, v24, v173
	v_mul_f16_e64 v17, v27, v173
	;; [unrolled: 1-line block ×3, first 2 shown]
	s_delay_alu instid0(VALU_DEP_3)
	v_fma_f16 v16, v27, v61, -v16
	ds_load_2addr_b32 v[26:27], v119 offset0:128 offset1:224
	v_fmac_f16_e32 v17, v24, v61
	v_mul_lo_u16 v24, v7, 60
	v_fmac_f16_e32 v99, v79, v60
	v_mul_f16_e64 v79, v79, v197
	s_delay_alu instid0(VALU_DEP_3) | instskip(SKIP_2) | instid1(VALU_DEP_1)
	v_sub_nc_u16 v89, v25, v24
	ds_load_2addr_b32 v[24:25], v125 offset1:96
	v_mad_u16 v7, 0x168, v7, v89
	v_and_b32_e32 v7, 0xffff, v7
	s_waitcnt lgkmcnt(1)
	v_lshrrev_b32_e32 v65, 16, v26
	v_mul_f16_e64 v88, v27, v146
	s_delay_alu instid0(VALU_DEP_3) | instskip(NEXT) | instid1(VALU_DEP_3)
	v_lshlrev_b32_e32 v179, 2, v7
	v_mul_f16_e64 v66, v65, v167
	s_waitcnt lgkmcnt(0)
	v_lshrrev_b32_e32 v90, 16, v25
	v_add_f16_e32 v91, v25, v16
	s_delay_alu instid0(VALU_DEP_3) | instskip(SKIP_3) | instid1(VALU_DEP_4)
	v_fma_f16 v78, v26, v237, -v66
	v_lshrrev_b32_e32 v66, 16, v27
	v_mul_f16_e64 v26, v26, v167
	v_lshrrev_b32_e32 v106, 16, v24
	v_sub_f16_e32 v112, v77, v78
	s_delay_alu instid0(VALU_DEP_4) | instskip(NEXT) | instid1(VALU_DEP_4)
	v_mul_f16_e64 v67, v66, v146
	v_fmac_f16_e64 v26, v65, v237
	v_fmac_f16_e32 v88, v66, v63
	ds_load_2addr_b32 v[65:66], v95 offset1:96
	v_fma_f16 v81, v27, v63, -v67
	ds_load_2addr_b32 v[67:68], v110 offset0:64 offset1:160
	v_sub_f16_e32 v108, v29, v26
	v_add_f16_e32 v27, v16, v81
	v_sub_f16_e32 v16, v16, v81
	s_delay_alu instid0(VALU_DEP_2) | instskip(SKIP_1) | instid1(VALU_DEP_1)
	v_fmac_f16_e32 v25, -0.5, v27
	v_sub_f16_e32 v27, v17, v88
	v_fmamk_f16 v92, v27, 0x3aee, v25
	v_fmac_f16_e32 v25, 0xbaee, v27
	s_waitcnt lgkmcnt(1)
	v_lshrrev_b32_e32 v27, 16, v65
	v_mul_f16_e64 v28, v65, v171
	s_waitcnt lgkmcnt(0)
	v_lshrrev_b32_e32 v31, 16, v67
	v_mul_f16_e32 v97, v67, v22
	s_delay_alu instid0(VALU_DEP_3) | instskip(SKIP_1) | instid1(VALU_DEP_3)
	v_fmac_f16_e32 v28, v27, v62
	v_mul_f16_e64 v27, v27, v171
	v_fmac_f16_e64 v97, v31, v166
	v_mul_f16_e32 v31, v31, v22
	s_delay_alu instid0(VALU_DEP_4) | instskip(NEXT) | instid1(VALU_DEP_4)
	v_add_f16_e32 v101, v99, v28
	v_fma_f16 v27, v65, v62, -v27
	s_delay_alu instid0(VALU_DEP_3) | instskip(SKIP_1) | instid1(VALU_DEP_2)
	v_fma_f16 v65, v67, v166, -v31
	v_fma_f16 v67, v69, v60, -v79
	v_add_f16_e32 v31, v27, v65
	s_delay_alu instid0(VALU_DEP_2) | instskip(SKIP_1) | instid1(VALU_DEP_3)
	v_add_f16_e32 v69, v67, v27
	v_sub_f16_e32 v27, v27, v65
	v_fmac_f16_e32 v67, -0.5, v31
	v_sub_f16_e32 v31, v28, v97
	s_delay_alu instid0(VALU_DEP_1) | instskip(SKIP_3) | instid1(VALU_DEP_2)
	v_fmamk_f16 v100, v31, 0x3aee, v67
	v_fmac_f16_e32 v67, 0xbaee, v31
	v_add_f16_e32 v31, v28, v97
	v_add_f16_e32 v28, v77, v78
	v_fmac_f16_e32 v99, -0.5, v31
	s_delay_alu instid0(VALU_DEP_2) | instskip(SKIP_1) | instid1(VALU_DEP_3)
	v_fma_f16 v103, -0.5, v28, v24
	v_add_f16_e32 v24, v24, v77
	v_fmamk_f16 v102, v27, 0xbaee, v99
	v_fmac_f16_e32 v99, 0x3aee, v27
	v_mul_f16_e32 v27, -0.5, v67
	s_delay_alu instid0(VALU_DEP_4) | instskip(SKIP_4) | instid1(VALU_DEP_1)
	v_add_f16_e32 v111, v24, v78
	v_add_f16_e32 v24, v19, v72
	v_fmamk_f16 v121, v108, 0x3aee, v103
	v_fmac_f16_e32 v103, 0xbaee, v108
	v_fmac_f16_e32 v27, 0x3aee, v99
	v_add_f16_e32 v104, v25, v27
	v_sub_f16_e32 v105, v25, v27
	v_add_f16_e32 v25, v106, v29
	v_add_f16_e32 v27, v29, v26
	s_delay_alu instid0(VALU_DEP_2)
	v_add_f16_e32 v109, v25, v26
	v_add_f16_e32 v26, v30, v71
	;; [unrolled: 1-line block ×3, first 2 shown]
	v_fmac_f16_e32 v54, -0.5, v24
	v_add_f16_e32 v24, v50, v30
	v_sub_f16_e32 v19, v19, v72
	v_fmac_f16_e32 v50, -0.5, v26
	v_add_f16_e32 v115, v25, v72
	v_fmac_f16_e32 v106, -0.5, v27
	v_add_f16_e32 v114, v24, v71
	v_fmamk_f16 v24, v113, 0xbaee, v54
	v_fmamk_f16 v25, v19, 0x3aee, v50
	v_fmac_f16_e32 v50, 0xbaee, v19
	v_fmamk_f16 v122, v112, 0xbaee, v106
	v_fmac_f16_e32 v54, 0x3aee, v113
	v_mul_f16_e32 v116, 0x3aee, v24
	v_mul_f16_e32 v117, 0xbaee, v25
	v_fmac_f16_e32 v106, 0x3aee, v112
	s_delay_alu instid0(VALU_DEP_4) | instskip(NEXT) | instid1(VALU_DEP_4)
	v_mul_f16_e32 v19, -0.5, v54
	v_fmac_f16_e32 v116, 0.5, v25
	s_delay_alu instid0(VALU_DEP_4) | instskip(SKIP_3) | instid1(VALU_DEP_4)
	v_fmac_f16_e32 v117, 0.5, v24
	v_cndmask_b32_e64 v24, 0, 0x168, vcc_lo
	v_cmp_gt_u16_e32 vcc_lo, 0x48, v46
	v_fmac_f16_e32 v19, 0xbaee, v50
	v_add_f16_e32 v25, v122, v117
	s_delay_alu instid0(VALU_DEP_4) | instskip(SKIP_2) | instid1(VALU_DEP_1)
	v_add_lshl_u32 v169, v0, v24, 2
	v_add_f16_e32 v0, v111, v114
	v_add_f16_e32 v24, v109, v115
	v_pack_b32_f16 v0, v0, v24
	v_add_f16_e32 v24, v121, v116
	s_delay_alu instid0(VALU_DEP_1) | instskip(SKIP_2) | instid1(VALU_DEP_2)
	v_pack_b32_f16 v126, v24, v25
	v_mul_u32_u24_e32 v24, 0x8889, v96
	v_mul_lo_u16 v25, v89, 20
	v_lshrrev_b32_e32 v96, 21, v24
	s_delay_alu instid0(VALU_DEP_2) | instskip(NEXT) | instid1(VALU_DEP_2)
	v_and_b32_e32 v26, 0xffff, v25
	v_mul_lo_u16 v24, v96, 60
	s_delay_alu instid0(VALU_DEP_1) | instskip(NEXT) | instid1(VALU_DEP_1)
	v_sub_nc_u16 v127, v41, v24
	v_mul_lo_u16 v24, v127, 20
	s_delay_alu instid0(VALU_DEP_1) | instskip(NEXT) | instid1(VALU_DEP_1)
	v_and_b32_e32 v24, 0xffff, v24
	v_add_co_u32 v24, s4, s6, v24
	s_delay_alu instid0(VALU_DEP_1) | instskip(SKIP_1) | instid1(VALU_DEP_1)
	v_add_co_ci_u32_e64 v25, null, s7, 0, s4
	v_add_co_u32 v26, s4, s6, v26
	v_add_co_ci_u32_e64 v27, null, s7, 0, s4
	s_clause 0x3
	global_load_b32 v165, v[24:25], off offset:216
	global_load_b32 v168, v[26:27], off offset:216
	global_load_b128 v[246:249], v[26:27], off offset:200
	global_load_b128 v[56:59], v[24:25], off offset:200
	ds_load_2addr_b32 v[71:72], v137 offset0:64 offset1:160
	ds_load_2addr_b32 v[77:78], v134 offset0:128 offset1:224
	;; [unrolled: 1-line block ×3, first 2 shown]
	s_waitcnt vmcnt(0) lgkmcnt(0)
	s_barrier
	buffer_gl0_inv
	ds_store_2addr_b32 v169, v0, v126 offset1:60
	v_mul_f16_e32 v0, -0.5, v50
	v_sub_f16_e32 v50, v111, v114
	v_add_co_u32 v1, s4, 0xffffffb8, v120
	s_delay_alu instid0(VALU_DEP_3)
	v_fmac_f16_e32 v0, 0x3aee, v54
	v_sub_f16_e32 v54, v109, v115
	v_add_f16_e32 v109, v106, v19
	v_sub_f16_e32 v19, v106, v19
	v_cndmask_b32_e32 v41, v1, v41, vcc_lo
	v_add_f16_e32 v108, v103, v0
	v_pack_b32_f16 v50, v50, v54
	v_sub_f16_e32 v0, v103, v0
	v_sub_f16_e32 v54, v122, v117
	v_mul_f16_e32 v1, -0.5, v18
	v_pack_b32_f16 v108, v108, v109
	s_delay_alu instid0(VALU_DEP_4) | instskip(SKIP_1) | instid1(VALU_DEP_4)
	v_pack_b32_f16 v0, v0, v19
	v_add_nc_u32_e32 v19, 0x200, v169
	v_fmac_f16_e32 v1, 0xbaee, v15
	ds_store_2addr_b32 v169, v108, v50 offset0:120 offset1:180
	v_sub_f16_e32 v50, v121, v116
	scratch_store_b32 off, v19, off offset:264 ; 4-byte Folded Spill
	v_pack_b32_f16 v50, v50, v54
	v_mul_f16_e32 v54, 0x3aee, v102
	ds_store_2addr_b32 v19, v50, v0 offset0:112 offset1:172
	v_add_f16_e32 v0, v90, v17
	v_add_f16_e32 v17, v17, v88
	;; [unrolled: 1-line block ×3, first 2 shown]
	v_and_b32_e32 v69, 0xffff, v73
	v_add_f16_e32 v50, v101, v97
	v_add_f16_e32 v0, v0, v88
	v_fmac_f16_e32 v90, -0.5, v17
	v_add_f16_e32 v17, v91, v81
	v_mul_u32_u24_e32 v69, 0x168, v69
	v_mul_f16_e32 v65, 0xbaee, v100
	v_add_f16_e32 v73, v0, v50
	v_sub_f16_e32 v0, v0, v50
	v_fmac_f16_e32 v54, 0.5, v100
	v_add_lshl_u32 v170, v69, v75, 2
	v_add_f16_e32 v69, v17, v19
	v_sub_f16_e32 v17, v17, v19
	v_fmac_f16_e32 v65, 0.5, v102
	v_add_f16_e32 v75, v92, v54
	s_delay_alu instid0(VALU_DEP_4) | instskip(SKIP_4) | instid1(VALU_DEP_4)
	v_pack_b32_f16 v69, v69, v73
	v_fmamk_f16 v73, v16, 0xbaee, v90
	v_fmac_f16_e32 v90, 0x3aee, v16
	v_mul_f16_e32 v16, -0.5, v99
	v_pack_b32_f16 v0, v17, v0
	v_sub_f16_e32 v17, v73, v65
	v_add_f16_e32 v81, v73, v65
	s_delay_alu instid0(VALU_DEP_4) | instskip(SKIP_1) | instid1(VALU_DEP_3)
	v_fmac_f16_e32 v16, 0xbaee, v67
	v_lshrrev_b32_e32 v65, 16, v68
	v_pack_b32_f16 v75, v75, v81
	s_delay_alu instid0(VALU_DEP_3)
	v_add_f16_e32 v19, v90, v16
	v_sub_f16_e32 v16, v90, v16
	v_lshrrev_b32_e32 v90, 16, v51
	ds_store_2addr_b32 v170, v69, v75 offset1:60
	v_pack_b32_f16 v19, v104, v19
	v_pack_b32_f16 v16, v105, v16
	v_lshrrev_b32_e32 v69, 16, v78
	v_lshrrev_b32_e32 v75, 16, v49
	ds_store_2addr_b32 v170, v19, v0 offset0:120 offset1:180
	v_sub_f16_e32 v0, v92, v54
	v_lshrrev_b32_e32 v19, 16, v66
	s_delay_alu instid0(VALU_DEP_2)
	v_pack_b32_f16 v0, v0, v17
	v_add_nc_u32_e32 v17, 0x200, v170
	ds_store_2addr_b32 v17, v0, v16 offset0:112 offset1:172
	v_lshrrev_b32_e32 v0, 16, v70
	scratch_store_b32 off, v17, off offset:260 ; 4-byte Folded Spill
	v_lshrrev_b32_e32 v22, 16, v168
	v_lshrrev_b32_e32 v106, 16, v246
	;; [unrolled: 1-line block ×5, first 2 shown]
	v_mul_f16_e32 v67, v68, v22
	v_mul_f16_e32 v16, v0, v106
	;; [unrolled: 1-line block ×3, first 2 shown]
	v_mul_f16_e64 v50, v19, v161
	v_mul_f16_e64 v73, v78, v138
	v_mul_f16_e32 v81, v79, v102
	v_fma_f16 v16, v70, v246, -v16
	v_mul_f16_e64 v70, v69, v138
	v_fma_f16 v50, v66, v248, -v50
	v_mul_f16_e64 v54, v66, v161
	v_mul_f16_e32 v66, v65, v22
	v_lshrrev_b32_e32 v104, 16, v247
	v_fma_f16 v70, v78, v57, -v70
	v_lshrrev_b32_e32 v78, 16, v79
	v_fmac_f16_e64 v17, v0, v246
	v_fma_f16 v66, v68, v168, -v66
	v_fmac_f16_e64 v67, v65, v168
	v_lshrrev_b32_e32 v0, 16, v53
	v_fmac_f16_e64 v81, v78, v249
	v_mul_f16_e32 v78, v78, v102
	v_lshrrev_b32_e32 v121, 16, v56
	v_lshrrev_b32_e32 v65, 16, v77
	v_mul_f16_e32 v68, v77, v104
	v_lshrrev_b32_e32 v117, 16, v59
	v_fma_f16 v78, v79, v249, -v78
	v_lshrrev_b32_e32 v79, 16, v80
	v_fmac_f16_e64 v54, v19, v248
	v_mul_f16_e32 v19, v0, v121
	v_fmac_f16_e64 v68, v65, v247
	v_mul_f16_e32 v65, v65, v104
	v_lshrrev_b32_e32 v113, 16, v58
	v_mul_f16_e32 v88, v79, v117
	v_fma_f16 v19, v53, v56, -v19
	v_mul_f16_e32 v53, v53, v121
	v_fma_f16 v65, v77, v247, -v65
	;; [unrolled: 2-line block ×3, first 2 shown]
	v_mul_f16_e32 v80, v80, v117
	v_lshrrev_b32_e32 v22, 16, v165
	v_fmac_f16_e32 v53, v0, v56
	v_fma_f16 v77, v49, v58, -v77
	v_mul_f16_e32 v49, v49, v113
	v_fmac_f16_e32 v73, v69, v57
	v_mul_f16_e32 v91, v90, v22
	v_fmac_f16_e32 v80, v79, v59
	v_add_f16_e32 v0, v70, v88
	v_fmac_f16_e32 v49, v75, v58
	v_lshrrev_b32_e32 v69, 16, v72
	v_fma_f16 v91, v51, v165, -v91
	v_mul_f16_e32 v51, v51, v22
	v_add_f16_e32 v75, v72, v70
	v_fmac_f16_e32 v72, -0.5, v0
	v_sub_f16_e32 v0, v73, v80
	v_add_f16_e32 v97, v65, v78
	v_fmac_f16_e64 v51, v90, v165
	v_add_f16_e32 v90, v19, v77
	v_add_f16_e32 v101, v68, v81
	v_fmamk_f16 v79, v0, 0x3aee, v72
	v_fmac_f16_e32 v72, 0xbaee, v0
	v_add_f16_e32 v0, v77, v91
	v_fma_f16 v97, -0.5, v97, v71
	v_mov_b32_e32 v22, v145
	s_delay_alu instid0(VALU_DEP_3) | instskip(SKIP_1) | instid1(VALU_DEP_3)
	v_fmac_f16_e32 v19, -0.5, v0
	v_sub_f16_e32 v0, v49, v51
	v_mov_b32_e32 v30, v22
	s_delay_alu instid0(VALU_DEP_2) | instskip(SKIP_3) | instid1(VALU_DEP_2)
	v_fmamk_f16 v92, v0, 0x3aee, v19
	v_fmac_f16_e32 v19, 0xbaee, v0
	v_add_f16_e32 v0, v49, v51
	v_add_f16_e32 v49, v53, v49
	v_fmac_f16_e32 v53, -0.5, v0
	v_sub_f16_e32 v0, v77, v91
	s_delay_alu instid0(VALU_DEP_3) | instskip(NEXT) | instid1(VALU_DEP_2)
	v_add_f16_e32 v49, v49, v51
	v_fmamk_f16 v77, v0, 0xbaee, v53
	v_fmac_f16_e32 v53, 0x3aee, v0
	v_mul_f16_e32 v0, -0.5, v19
	s_delay_alu instid0(VALU_DEP_3) | instskip(NEXT) | instid1(VALU_DEP_2)
	v_mul_f16_e32 v51, 0x3aee, v77
	v_fmac_f16_e32 v0, 0x3aee, v53
	s_delay_alu instid0(VALU_DEP_2) | instskip(NEXT) | instid1(VALU_DEP_2)
	v_fmac_f16_e32 v51, 0.5, v92
	v_add_f16_e32 v99, v72, v0
	v_sub_f16_e32 v0, v72, v0
	v_lshrrev_b32_e32 v72, 16, v71
	v_add_f16_e32 v71, v71, v65
	v_sub_f16_e32 v65, v65, v78
	s_delay_alu instid0(VALU_DEP_3) | instskip(NEXT) | instid1(VALU_DEP_3)
	v_add_f16_e32 v100, v72, v68
	v_add_f16_e32 v71, v71, v78
	;; [unrolled: 1-line block ×3, first 2 shown]
	v_sub_f16_e32 v68, v68, v81
	v_fmac_f16_e32 v72, -0.5, v101
	v_add_f16_e32 v81, v100, v81
	v_add_f16_e32 v100, v17, v54
	v_fmac_f16_e32 v17, -0.5, v78
	v_add_f16_e32 v78, v16, v50
	v_add_f16_e32 v101, v50, v66
	v_sub_f16_e32 v50, v50, v66
	v_sub_f16_e32 v54, v54, v67
	v_add_f16_e32 v67, v100, v67
	v_add_f16_e32 v66, v78, v66
	v_fmac_f16_e32 v16, -0.5, v101
	v_fmamk_f16 v78, v50, 0xbaee, v17
	v_fmac_f16_e32 v17, 0x3aee, v50
	v_add_f16_e32 v89, v81, v67
	v_fmamk_f16 v103, v65, 0xbaee, v72
	v_fmamk_f16 v100, v54, 0x3aee, v16
	v_mul_f16_e32 v101, 0x3aee, v78
	v_fmac_f16_e32 v16, 0xbaee, v54
	v_fmac_f16_e32 v72, 0x3aee, v65
	v_sub_f16_e32 v50, v81, v67
	s_delay_alu instid0(VALU_DEP_4) | instskip(SKIP_2) | instid1(VALU_DEP_2)
	v_fmac_f16_e32 v101, 0.5, v100
	v_mul_f16_e32 v100, 0xbaee, v100
	v_mul_f16_e32 v7, -0.5, v16
	v_fmac_f16_e32 v100, 0.5, v78
	v_add_f16_e32 v78, v71, v66
	s_delay_alu instid0(VALU_DEP_3) | instskip(SKIP_1) | instid1(VALU_DEP_4)
	v_fmac_f16_e32 v7, 0x3aee, v17
	v_mul_f16_e32 v17, -0.5, v17
	v_add_f16_e32 v108, v103, v100
	s_delay_alu instid0(VALU_DEP_4)
	v_pack_b32_f16 v78, v78, v89
	v_fmamk_f16 v89, v68, 0x3aee, v97
	v_fmac_f16_e32 v97, 0xbaee, v68
	v_fmac_f16_e32 v17, 0xbaee, v16
	v_sub_f16_e32 v16, v71, v66
	v_add_f16_e32 v68, v79, v51
	v_add_f16_e32 v105, v89, v101
	;; [unrolled: 1-line block ×4, first 2 shown]
	v_pack_b32_f16 v16, v16, v50
	v_sub_f16_e32 v7, v97, v7
	v_sub_f16_e32 v50, v103, v100
	;; [unrolled: 1-line block ×3, first 2 shown]
	v_pack_b32_f16 v54, v54, v65
	v_mad_u16 v65, 0x168, v96, v127
	v_pack_b32_f16 v105, v105, v108
	s_delay_alu instid0(VALU_DEP_4)
	v_pack_b32_f16 v7, v7, v17
	ds_store_2addr_b32 v179, v54, v16 offset0:120 offset1:180
	v_sub_f16_e32 v16, v89, v101
	v_add_nc_u32_e32 v17, 0x200, v179
	v_mul_f16_e32 v54, 0xbaee, v92
	v_and_b32_e32 v65, 0xffff, v65
	ds_store_2addr_b32 v179, v78, v105 offset1:60
	v_pack_b32_f16 v16, v16, v50
	v_add_f16_e32 v50, v90, v91
	scratch_store_b32 off, v17, off offset:276 ; 4-byte Folded Spill
	v_fmac_f16_e32 v54, 0.5, v77
	v_lshlrev_b32_e32 v177, 2, v65
	ds_store_2addr_b32 v17, v16, v7 offset0:112 offset1:172
	v_add_f16_e32 v7, v69, v73
	v_add_f16_e32 v16, v73, v80
	v_sub_f16_e32 v17, v70, v88
	s_delay_alu instid0(VALU_DEP_3) | instskip(NEXT) | instid1(VALU_DEP_3)
	v_add_f16_e32 v7, v7, v80
	v_fmac_f16_e32 v69, -0.5, v16
	v_add_f16_e32 v16, v75, v88
	s_delay_alu instid0(VALU_DEP_3) | instskip(SKIP_1) | instid1(VALU_DEP_3)
	v_add_f16_e32 v67, v7, v49
	v_sub_f16_e32 v7, v7, v49
	v_add_f16_e32 v66, v16, v50
	v_sub_f16_e32 v16, v16, v50
	s_delay_alu instid0(VALU_DEP_2) | instskip(SKIP_4) | instid1(VALU_DEP_4)
	v_pack_b32_f16 v66, v66, v67
	v_fmamk_f16 v67, v17, 0xbaee, v69
	v_fmac_f16_e32 v69, 0x3aee, v17
	v_mul_f16_e32 v17, -0.5, v53
	v_pack_b32_f16 v7, v16, v7
	v_sub_f16_e32 v16, v67, v54
	v_add_f16_e32 v70, v67, v54
	s_delay_alu instid0(VALU_DEP_4) | instskip(NEXT) | instid1(VALU_DEP_2)
	v_fmac_f16_e32 v17, 0xbaee, v19
	v_pack_b32_f16 v68, v68, v70
	s_delay_alu instid0(VALU_DEP_2)
	v_add_f16_e32 v19, v69, v17
	v_sub_f16_e32 v17, v69, v17
	ds_store_2addr_b32 v177, v66, v68 offset1:60
	v_pack_b32_f16 v19, v99, v19
	v_pack_b32_f16 v0, v0, v17
	ds_store_2addr_b32 v177, v19, v7 offset0:120 offset1:180
	v_sub_f16_e32 v7, v79, v51
	s_delay_alu instid0(VALU_DEP_1)
	v_pack_b32_f16 v7, v7, v16
	v_add_nc_u32_e32 v16, 0x200, v177
	ds_store_2addr_b32 v16, v7, v0 offset0:112 offset1:172
	v_add_f16_e32 v0, v9, v4
	v_add_f16_e32 v4, v4, v6
	v_mul_f16_e32 v7, 0x3aee, v20
	s_delay_alu instid0(VALU_DEP_3) | instskip(NEXT) | instid1(VALU_DEP_3)
	v_add_f16_e32 v0, v0, v6
	v_fmac_f16_e32 v9, -0.5, v4
	v_add_f16_e32 v4, v10, v5
	v_add_f16_e32 v5, v21, v13
	;; [unrolled: 1-line block ×3, first 2 shown]
	v_mul_f16_e32 v10, 0xbaee, v42
	v_fmac_f16_e32 v7, 0.5, v42
	s_delay_alu instid0(VALU_DEP_4) | instskip(NEXT) | instid1(VALU_DEP_4)
	v_add_f16_e32 v2, v4, v5
	v_add_f16_e32 v12, v0, v6
	s_delay_alu instid0(VALU_DEP_4) | instskip(NEXT) | instid1(VALU_DEP_4)
	v_fmac_f16_e32 v10, 0.5, v20
	v_add_f16_e32 v13, v11, v7
	v_sub_f16_e32 v0, v0, v6
	s_delay_alu instid0(VALU_DEP_4) | instskip(SKIP_2) | instid1(VALU_DEP_2)
	v_pack_b32_f16 v2, v2, v12
	v_fmamk_f16 v12, v3, 0xbaee, v9
	v_fmac_f16_e32 v9, 0x3aee, v3
	v_add_f16_e32 v14, v12, v10
	s_delay_alu instid0(VALU_DEP_2) | instskip(SKIP_1) | instid1(VALU_DEP_3)
	v_add_f16_e32 v3, v9, v1
	v_sub_f16_e32 v1, v9, v1
	v_pack_b32_f16 v13, v13, v14
	s_delay_alu instid0(VALU_DEP_3) | instskip(NEXT) | instid1(VALU_DEP_3)
	v_pack_b32_f16 v3, v52, v3
	v_pack_b32_f16 v1, v8, v1
	ds_store_2addr_b32 v175, v2, v13 offset1:60
	v_add_co_ci_u32_e64 v2, null, 0, -1, s4
	s_delay_alu instid0(VALU_DEP_1) | instskip(SKIP_1) | instid1(VALU_DEP_2)
	v_cndmask_b32_e32 v42, v2, v94, vcc_lo
	v_sub_f16_e32 v2, v4, v5
	v_lshlrev_b64 v[49:50], 2, v[41:42]
	s_delay_alu instid0(VALU_DEP_2)
	v_pack_b32_f16 v0, v2, v0
	v_sub_f16_e32 v2, v12, v10
	ds_store_2addr_b32 v175, v3, v0 offset0:120 offset1:180
	v_sub_f16_e32 v0, v11, v7
	v_add_co_u32 v49, vcc_lo, s6, v49
	v_add_co_ci_u32_e32 v50, vcc_lo, s7, v50, vcc_lo
	s_delay_alu instid0(VALU_DEP_3)
	v_pack_b32_f16 v0, v0, v2
	v_add_nc_u32_e32 v2, 0x200, v175
	scratch_store_b32 off, v16, off offset:272 ; 4-byte Folded Spill
	v_cmp_lt_u16_e32 vcc_lo, 0x47, v46
	scratch_store_b32 off, v2, off offset:268 ; 4-byte Folded Spill
	ds_store_2addr_b32 v2, v0, v1 offset0:112 offset1:172
	v_add_nc_u32_e32 v0, 0x360, v120
	s_waitcnt lgkmcnt(0)
	s_waitcnt_vscnt null, 0x0
	s_barrier
	buffer_gl0_inv
	global_load_b32 v164, v[49:50], off offset:1400
	v_and_b32_e32 v1, 0xffff, v0
	s_delay_alu instid0(VALU_DEP_1) | instskip(NEXT) | instid1(VALU_DEP_1)
	v_mul_u32_u24_e32 v1, 0x2d83, v1
	v_lshrrev_b32_e32 v1, 22, v1
	s_delay_alu instid0(VALU_DEP_1) | instskip(NEXT) | instid1(VALU_DEP_1)
	v_mul_lo_u16 v1, 0x168, v1
	v_sub_nc_u16 v50, v0, v1
	v_add_nc_u32_e32 v0, 0x3c0, v120
	s_delay_alu instid0(VALU_DEP_1) | instskip(NEXT) | instid1(VALU_DEP_1)
	v_and_b32_e32 v1, 0xffff, v0
	v_mul_u32_u24_e32 v1, 0x2d83, v1
	s_delay_alu instid0(VALU_DEP_1) | instskip(NEXT) | instid1(VALU_DEP_1)
	v_lshrrev_b32_e32 v1, 22, v1
	v_mul_lo_u16 v1, 0x168, v1
	s_delay_alu instid0(VALU_DEP_1) | instskip(SKIP_1) | instid1(VALU_DEP_2)
	v_sub_nc_u16 v0, v0, v1
	v_add_co_u32 v1, null, 0x420, v120
	v_and_b32_e32 v0, 0xffff, v0
	s_delay_alu instid0(VALU_DEP_2) | instskip(NEXT) | instid1(VALU_DEP_2)
	v_and_b32_e32 v2, 0xffff, v1
	v_lshlrev_b32_e32 v201, 2, v0
	s_delay_alu instid0(VALU_DEP_2) | instskip(NEXT) | instid1(VALU_DEP_1)
	v_mul_u32_u24_e32 v2, 0x2d83, v2
	v_lshrrev_b32_e32 v42, 22, v2
	s_delay_alu instid0(VALU_DEP_1) | instskip(NEXT) | instid1(VALU_DEP_1)
	v_mul_lo_u16 v2, 0x168, v42
	v_sub_nc_u16 v49, v1, v2
	v_add_nc_u32_e32 v1, 0x4e0, v120
	s_delay_alu instid0(VALU_DEP_1) | instskip(NEXT) | instid1(VALU_DEP_1)
	v_and_b32_e32 v2, 0xffff, v1
	v_mul_u32_u24_e32 v2, 0x2d83, v2
	s_delay_alu instid0(VALU_DEP_1) | instskip(NEXT) | instid1(VALU_DEP_1)
	v_lshrrev_b32_e32 v2, 22, v2
	v_mul_lo_u16 v2, 0x168, v2
	s_delay_alu instid0(VALU_DEP_1) | instskip(SKIP_1) | instid1(VALU_DEP_2)
	v_sub_nc_u16 v1, v1, v2
	v_add_nc_u32_e32 v2, 0x540, v120
	v_and_b32_e32 v1, 0xffff, v1
	s_delay_alu instid0(VALU_DEP_2) | instskip(NEXT) | instid1(VALU_DEP_2)
	v_and_b32_e32 v3, 0xffff, v2
	v_lshlrev_b32_e32 v194, 2, v1
	s_delay_alu instid0(VALU_DEP_2) | instskip(NEXT) | instid1(VALU_DEP_1)
	v_mul_u32_u24_e32 v3, 0x2d83, v3
	v_lshrrev_b32_e32 v3, 22, v3
	s_delay_alu instid0(VALU_DEP_1) | instskip(NEXT) | instid1(VALU_DEP_1)
	v_mul_lo_u16 v3, 0x168, v3
	v_sub_nc_u16 v2, v2, v3
	v_add_co_u32 v3, s4, 0x2a0, v120
	s_delay_alu instid0(VALU_DEP_1) | instskip(NEXT) | instid1(VALU_DEP_3)
	v_add_co_ci_u32_e64 v4, null, 0, 0, s4
	v_and_b32_e32 v2, 0xffff, v2
	s_delay_alu instid0(VALU_DEP_3) | instskip(NEXT) | instid1(VALU_DEP_2)
	v_and_b32_e32 v5, 0xffff, v3
	v_lshlrev_b32_e32 v192, 2, v2
	s_delay_alu instid0(VALU_DEP_2) | instskip(NEXT) | instid1(VALU_DEP_1)
	v_mul_u32_u24_e32 v5, 0x2d83, v5
	v_lshrrev_b32_e32 v5, 22, v5
	s_delay_alu instid0(VALU_DEP_1) | instskip(NEXT) | instid1(VALU_DEP_1)
	v_mul_lo_u16 v6, 0x168, v5
	v_sub_nc_u16 v6, v3, v6
	s_delay_alu instid0(VALU_DEP_1) | instskip(SKIP_1) | instid1(VALU_DEP_2)
	v_and_b32_e32 v7, 0xffff, v6
	v_mad_u16 v5, 0x2d0, v5, v6
	v_lshlrev_b32_e32 v7, 2, v7
	s_clause 0x5
	global_load_b32 v205, v7, s[6:7] offset:1400
	global_load_b32 v90, v125, s[6:7] offset:1400
	;; [unrolled: 1-line block ×6, first 2 shown]
	ds_load_2addr_b32 v[51:52], v123 offset0:64 offset1:160
	ds_load_2addr_b32 v[53:54], v95 offset1:96
	s_clause 0x1
	scratch_store_b32 off, v133, off offset:240
	scratch_store_b32 off, v139, off offset:256
	s_waitcnt lgkmcnt(1)
	v_lshrrev_b32_e32 v7, 16, v52
	s_waitcnt lgkmcnt(0)
	v_lshrrev_b32_e32 v9, 16, v53
	v_lshrrev_b32_e32 v0, 16, v54
	v_lshrrev_b32_e32 v77, 16, v51
	s_waitcnt vmcnt(6)
	v_lshrrev_b32_e32 v31, 16, v164
	s_waitcnt vmcnt(5)
	v_lshrrev_b32_e32 v251, 16, v205
	;; [unrolled: 2-line block ×6, first 2 shown]
	v_mul_f16_e32 v8, v52, v109
	s_delay_alu instid0(VALU_DEP_2) | instskip(NEXT) | instid1(VALU_DEP_2)
	v_mul_f16_e32 v10, v53, v94
	v_fmac_f16_e32 v8, v7, v90
	v_mul_f16_e32 v7, v7, v109
	s_delay_alu instid0(VALU_DEP_3) | instskip(SKIP_1) | instid1(VALU_DEP_3)
	v_fmac_f16_e32 v10, v9, v69
	v_mul_f16_e32 v9, v9, v94
	v_fma_f16 v7, v52, v90, -v7
	s_delay_alu instid0(VALU_DEP_2)
	v_fma_f16 v9, v53, v69, -v9
	ds_load_2addr_b32 v[52:53], v125 offset1:96
	s_waitcnt lgkmcnt(0)
	v_lshrrev_b32_e32 v11, 16, v52
	v_sub_f16_e32 v7, v52, v7
	v_lshrrev_b32_e32 v12, 16, v53
	v_sub_f16_e32 v9, v53, v9
	s_delay_alu instid0(VALU_DEP_4) | instskip(NEXT) | instid1(VALU_DEP_4)
	v_sub_f16_e32 v8, v11, v8
	v_fma_f16 v13, v52, 2.0, -v7
	s_delay_alu instid0(VALU_DEP_3) | instskip(NEXT) | instid1(VALU_DEP_3)
	v_fma_f16 v14, v53, 2.0, -v9
	v_fma_f16 v11, v11, 2.0, -v8
	v_pack_b32_f16 v7, v7, v8
	v_sub_f16_e32 v8, v12, v10
	s_delay_alu instid0(VALU_DEP_3) | instskip(SKIP_1) | instid1(VALU_DEP_3)
	v_pack_b32_f16 v11, v13, v11
	v_mul_u32_u24_e32 v13, 0x2d83, v139
	v_fma_f16 v10, v12, 2.0, -v8
	v_mul_u32_u24_e32 v12, 0x2d83, v133
	s_delay_alu instid0(VALU_DEP_3) | instskip(NEXT) | instid1(VALU_DEP_3)
	v_lshrrev_b32_e32 v13, 22, v13
	v_pack_b32_f16 v10, v14, v10
	s_delay_alu instid0(VALU_DEP_3) | instskip(SKIP_1) | instid1(VALU_DEP_4)
	v_lshrrev_b32_e32 v12, 22, v12
	v_and_b32_e32 v14, 0xffff, v50
	v_mul_lo_u16 v13, 0x168, v13
	s_delay_alu instid0(VALU_DEP_3) | instskip(NEXT) | instid1(VALU_DEP_3)
	v_mul_lo_u16 v12, 0x168, v12
	v_lshlrev_b32_e32 v200, 2, v14
	s_delay_alu instid0(VALU_DEP_2) | instskip(SKIP_1) | instid1(VALU_DEP_2)
	v_sub_nc_u16 v12, v133, v12
	v_lshrrev_b32_e32 v133, 16, v207
	v_and_b32_e32 v12, 0xffff, v12
	s_delay_alu instid0(VALU_DEP_1) | instskip(SKIP_2) | instid1(VALU_DEP_2)
	v_lshlrev_b32_e32 v203, 2, v12
	v_sub_nc_u16 v12, v139, v13
	v_and_b32_e32 v13, 0xffff, v49
	v_and_b32_e32 v12, 0xffff, v12
	s_delay_alu instid0(VALU_DEP_2) | instskip(NEXT) | instid1(VALU_DEP_2)
	v_lshlrev_b32_e32 v13, 2, v13
	v_lshlrev_b32_e32 v196, 2, v12
	s_clause 0x7
	global_load_b32 v218, v13, s[6:7] offset:1400
	global_load_b32 v81, v125, s[6:7] offset:2168
	;; [unrolled: 1-line block ×8, first 2 shown]
	ds_load_2addr_b32 v[52:53], v137 offset0:64 offset1:160
	ds_load_2addr_b32 v[65:66], v124 offset0:64 offset1:160
	;; [unrolled: 1-line block ×6, first 2 shown]
	ds_load_2addr_b32 v[99:100], v135 offset1:96
	ds_load_2addr_b32 v[96:97], v118 offset1:96
	ds_load_2addr_b32 v[111:112], v98 offset0:64 offset1:160
	ds_load_2addr_b32 v[114:115], v110 offset0:64 offset1:160
	;; [unrolled: 1-line block ×4, first 2 shown]
	s_waitcnt vmcnt(0) lgkmcnt(0)
	s_waitcnt_vscnt null, 0x0
	s_barrier
	buffer_gl0_inv
	ds_store_b32 v125, v7 offset:1440
	ds_store_2addr_b32 v125, v11, v10 offset1:96
	v_lshrrev_b32_e32 v12, 16, v67
	v_lshrrev_b32_e32 v10, 16, v79
	v_mul_f16_e64 v11, v79, v244
	v_lshrrev_b32_e32 v13, 16, v68
	s_delay_alu instid0(VALU_DEP_2)
	v_fmac_f16_e64 v11, v10, v214
	v_mul_f16_e64 v10, v10, v244
	v_lshrrev_b32_e32 v17, 16, v155
	v_lshrrev_b32_e32 v19, 16, v156
	;; [unrolled: 1-line block ×4, first 2 shown]
	v_fma_f16 v10, v79, v214, -v10
	s_delay_alu instid0(VALU_DEP_1) | instskip(NEXT) | instid1(VALU_DEP_1)
	v_sub_f16_e32 v10, v68, v10
	v_fma_f16 v15, v68, 2.0, -v10
	v_lshrrev_b32_e32 v72, 16, v81
	v_lshrrev_b32_e32 v250, 16, v228
	v_lshrrev_b32_e32 v252, 16, v227
	v_lshrrev_b32_e32 v253, 16, v220
	v_lshrrev_b32_e32 v122, 16, v217
	v_mul_f16_e32 v1, v0, v72
	v_mul_f16_e32 v2, v54, v72
	v_lshrrev_b32_e32 v255, 16, v226
	v_lshrrev_b32_e32 v126, 16, v218
	v_mul_f16_e64 v16, v115, v253
	v_fma_f16 v1, v54, v81, -v1
	v_fmac_f16_e32 v2, v0, v81
	v_lshrrev_b32_e32 v0, 16, v52
	v_mul_f16_e64 v21, v155, v122
	v_mul_f16_e32 v18, v17, v122
	v_sub_f16_e32 v1, v52, v1
	v_lshrrev_b32_e32 v254, 16, v215
	v_sub_f16_e32 v2, v0, v2
	v_fmac_f16_e64 v21, v17, v217
	v_lshrrev_b32_e32 v17, 16, v100
	v_fma_f16 v7, v52, 2.0, -v1
	v_mul_f16_e64 v20, v19, v254
	v_fma_f16 v0, v0, 2.0, -v2
	v_fma_f16 v18, v155, v217, -v18
	s_delay_alu instid0(VALU_DEP_3) | instskip(NEXT) | instid1(VALU_DEP_3)
	v_fma_f16 v20, v156, v215, -v20
	v_pack_b32_f16 v0, v7, v0
	v_pack_b32_f16 v7, v9, v8
	v_mul_f16_e32 v8, v65, v31
	v_mul_f16_e32 v9, v66, v29
	v_sub_f16_e64 v18, v154, v18
	ds_store_b32 v125, v0 offset:768
	v_pack_b32_f16 v0, v1, v2
	v_add_nc_u32_e32 v1, 0x600, v125
	v_lshrrev_b32_e32 v2, 16, v66
	v_sub_f16_e32 v20, v51, v20
	v_fma_f16 v75, v154, 2.0, -v18
	ds_store_2addr_b32 v1, v7, v0 offset0:72 offset1:168
	v_cndmask_b32_e64 v0, 0, 0x2d0, vcc_lo
	v_mov_b32_e32 v28, v1
	v_mul_f16_e32 v7, v2, v29
	v_fmac_f16_e64 v9, v2, v224
	v_cmp_gt_u16_e32 vcc_lo, 48, v46
	v_add_lshl_u32 v243, v41, v0, 2
	v_lshrrev_b32_e32 v0, 16, v65
	v_fma_f16 v7, v66, v224, -v7
	v_mul_f16_e64 v41, v156, v254
	v_lshrrev_b32_e32 v66, 16, v112
	v_fma_f16 v51, v51, 2.0, -v20
	v_mul_f16_e32 v1, v0, v31
	v_fmac_f16_e64 v8, v0, v164
	v_sub_f16_e32 v7, v67, v7
	v_fmac_f16_e64 v41, v19, v215
	s_delay_alu instid0(VALU_DEP_4) | instskip(SKIP_1) | instid1(VALU_DEP_4)
	v_fma_f16 v1, v65, v164, -v1
	v_lshrrev_b32_e32 v65, 16, v111
	v_fma_f16 v14, v67, 2.0, -v7
	s_delay_alu instid0(VALU_DEP_3) | instskip(SKIP_1) | instid1(VALU_DEP_2)
	v_sub_f16_e32 v0, v53, v1
	v_lshrrev_b32_e32 v1, 16, v53
	v_fma_f16 v2, v53, 2.0, -v0
	s_delay_alu instid0(VALU_DEP_2) | instskip(NEXT) | instid1(VALU_DEP_1)
	v_sub_f16_e32 v8, v1, v8
	v_fma_f16 v1, v1, 2.0, -v8
	v_pack_b32_f16 v0, v0, v8
	s_delay_alu instid0(VALU_DEP_2)
	v_pack_b32_f16 v1, v2, v1
	v_sub_f16_e32 v2, v12, v9
	v_sub_f16_e32 v9, v13, v11
	ds_store_b32 v243, v1
	ds_store_b32 v243, v0 offset:1440
	v_fma_f16 v8, v12, 2.0, -v2
	v_fma_f16 v11, v13, 2.0, -v9
	v_lshrrev_b32_e32 v0, 16, v80
	v_lshrrev_b32_e32 v13, 16, v115
	s_delay_alu instid0(VALU_DEP_4) | instskip(NEXT) | instid1(VALU_DEP_4)
	v_pack_b32_f16 v8, v14, v8
	v_pack_b32_f16 v11, v15, v11
	s_delay_alu instid0(VALU_DEP_4)
	v_mul_f16_e64 v1, v0, v133
	v_mul_f16_e32 v15, v114, v126
	v_mul_f16_e64 v14, v13, v253
	v_fmac_f16_e64 v16, v13, v220
	ds_store_2addr_b32 v150, v8, v11 offset0:104 offset1:200
	v_mul_f16_e64 v8, v80, v133
	v_fma_f16 v1, v80, v207, -v1
	v_lshrrev_b32_e32 v11, 16, v114
	v_lshrrev_b32_e32 v13, 16, v99
	v_fma_f16 v14, v115, v220, -v14
	v_fmac_f16_e64 v8, v0, v207
	v_pack_b32_f16 v0, v7, v2
	v_lshrrev_b32_e32 v2, 16, v88
	v_sub_f16_e32 v1, v88, v1
	v_mul_f16_e32 v12, v11, v126
	v_fmac_f16_e64 v15, v11, v218
	v_sub_f16_e64 v14, v153, v14
	v_sub_f16_e32 v7, v2, v8
	v_fma_f16 v8, v88, 2.0, -v1
	v_fma_f16 v12, v114, v218, -v12
	s_delay_alu instid0(VALU_DEP_4) | instskip(NEXT) | instid1(VALU_DEP_4)
	v_fma_f16 v73, v153, 2.0, -v14
	v_fma_f16 v2, v2, 2.0, -v7
	v_pack_b32_f16 v1, v1, v7
	v_mul_f16_e64 v7, v92, v250
	v_sub_f16_e32 v12, v112, v12
	s_delay_alu instid0(VALU_DEP_4) | instskip(SKIP_1) | instid1(VALU_DEP_3)
	v_pack_b32_f16 v2, v8, v2
	v_lshrrev_b32_e32 v8, 16, v97
	v_fma_f16 v68, v112, 2.0, -v12
	ds_store_2addr_b32 v98, v2, v0 offset0:40 offset1:208
	v_add_co_u32 v0, s4, 0xffffffd0, v120
	s_delay_alu instid0(VALU_DEP_1) | instskip(NEXT) | instid1(VALU_DEP_2)
	v_add_co_ci_u32_e64 v2, null, 0, -1, s4
	v_cndmask_b32_e32 v52, v0, v3, vcc_lo
	v_pack_b32_f16 v0, v10, v9
	s_delay_alu instid0(VALU_DEP_3)
	v_cndmask_b32_e32 v53, v2, v4, vcc_lo
	v_mul_f16_e64 v4, v91, v251
	v_mul_f16_e64 v10, v97, v255
	v_lshrrev_b32_e32 v2, 16, v92
	ds_store_2addr_b32 v145, v0, v1 offset0:48 offset1:144
	v_lshrrev_b32_e32 v0, 16, v91
	v_mul_f16_e64 v9, v8, v255
	v_fmac_f16_e64 v10, v8, v226
	v_lshrrev_b32_e32 v8, 16, v89
	v_mul_f16_e64 v3, v2, v250
	v_mul_f16_e64 v1, v0, v251
	v_fmac_f16_e64 v4, v0, v205
	v_fmac_f16_e64 v7, v2, v228
	v_lshrrev_b32_e32 v0, 16, v96
	v_mul_f16_e64 v2, v96, v252
	v_fma_f16 v1, v91, v205, -v1
	v_sub_f16_e32 v4, v8, v4
	v_fma_f16 v3, v92, v228, -v3
	v_fma_f16 v9, v97, v226, -v9
	v_fmac_f16_e64 v2, v0, v227
	v_sub_f16_e32 v1, v89, v1
	v_mul_f16_e64 v0, v0, v252
	v_fma_f16 v6, v8, 2.0, -v4
	v_sub_f16_e32 v3, v99, v3
	v_sub_f16_e32 v2, v17, v2
	v_fma_f16 v11, v89, 2.0, -v1
	v_pack_b32_f16 v1, v1, v4
	v_and_b32_e32 v4, 0xffff, v5
	v_fma_f16 v0, v96, v227, -v0
	v_fma_f16 v19, v99, 2.0, -v3
	v_pack_b32_f16 v6, v11, v6
	v_sub_f16_e32 v9, v111, v9
	v_lshlrev_b32_e32 v97, 2, v4
	v_sub_f16_e32 v0, v100, v0
	ds_store_b32 v97, v6
	ds_store_b32 v97, v1 offset:1440
	v_sub_f16_e32 v1, v13, v7
	v_fma_f16 v50, v100, 2.0, -v0
	v_pack_b32_f16 v0, v0, v2
	v_fma_f16 v67, v111, 2.0, -v9
	v_lshlrev_b64 v[53:54], 2, v[52:53]
	v_fma_f16 v4, v13, 2.0, -v1
	v_pack_b32_f16 v1, v3, v1
	v_fma_f16 v3, v17, 2.0, -v2
	v_sub_f16_e32 v2, v65, v10
	s_delay_alu instid0(VALU_DEP_4) | instskip(SKIP_1) | instid1(VALU_DEP_3)
	v_pack_b32_f16 v4, v19, v4
	v_add_co_u32 v53, vcc_lo, s6, v53
	v_fma_f16 v5, v65, 2.0, -v2
	v_pack_b32_f16 v3, v50, v3
	v_pack_b32_f16 v2, v9, v2
	v_add_co_ci_u32_e32 v54, vcc_lo, s7, v54, vcc_lo
	s_delay_alu instid0(VALU_DEP_4)
	v_pack_b32_f16 v5, v67, v5
	ds_store_b32 v203, v4 offset:5760
	ds_store_b32 v203, v1 offset:7200
	;; [unrolled: 1-line block ×6, first 2 shown]
	v_mad_u16 v0, 0x2d0, v42, v49
	v_sub_f16_e32 v1, v66, v15
	v_sub_f16_e32 v4, v77, v41
	v_add_co_u32 v49, s4, s6, v125
	s_delay_alu instid0(VALU_DEP_4) | instskip(NEXT) | instid1(VALU_DEP_4)
	v_and_b32_e32 v0, 0xffff, v0
	v_fma_f16 v2, v66, 2.0, -v1
	v_pack_b32_f16 v1, v12, v1
	v_add_co_ci_u32_e64 v50, null, s7, 0, s4
	s_delay_alu instid0(VALU_DEP_4) | instskip(NEXT) | instid1(VALU_DEP_4)
	v_lshlrev_b32_e32 v163, 2, v0
	v_pack_b32_f16 v2, v68, v2
	v_sub_f16_e32 v0, v70, v16
	ds_store_b32 v163, v2
	ds_store_b32 v163, v1 offset:1440
	v_sub_f16_e32 v2, v71, v21
	v_fma_f16 v1, v70, 2.0, -v0
	v_fma_f16 v5, v77, 2.0, -v4
	v_add_co_u32 v41, vcc_lo, 0x1000, v49
	s_delay_alu instid0(VALU_DEP_4) | instskip(NEXT) | instid1(VALU_DEP_4)
	v_fma_f16 v3, v71, 2.0, -v2
	v_pack_b32_f16 v1, v73, v1
	v_pack_b32_f16 v0, v14, v0
	v_add_co_ci_u32_e32 v42, vcc_lo, 0, v50, vcc_lo
	s_delay_alu instid0(VALU_DEP_4)
	v_pack_b32_f16 v3, v75, v3
	v_pack_b32_f16 v2, v18, v2
	;; [unrolled: 1-line block ×4, first 2 shown]
	ds_store_b32 v196, v1 offset:8640
	ds_store_b32 v196, v0 offset:10080
	;; [unrolled: 1-line block ×6, first 2 shown]
	s_waitcnt lgkmcnt(0)
	s_barrier
	buffer_gl0_inv
	s_clause 0x5
	global_load_b32 v238, v125, s[6:7] offset:2840
	global_load_b32 v182, v[41:42], off offset:88
	global_load_b32 v183, v125, s[6:7] offset:3800
	global_load_b32 v186, v125, s[6:7] offset:3416
	;; [unrolled: 1-line block ×4, first 2 shown]
	ds_load_2addr_b32 v[65:66], v123 offset0:64 offset1:160
	ds_load_2addr_b32 v[67:68], v95 offset1:96
	v_cmp_lt_u16_e32 vcc_lo, 47, v46
	s_waitcnt lgkmcnt(1)
	v_lshrrev_b32_e32 v0, 16, v66
	s_waitcnt lgkmcnt(0)
	v_lshrrev_b32_e32 v2, 16, v67
	s_waitcnt vmcnt(5)
	v_lshrrev_b32_e32 v198, 16, v238
	s_waitcnt vmcnt(4)
	;; [unrolled: 2-line block ×6, first 2 shown]
	v_lshrrev_b32_e32 v145, 16, v71
	v_mul_f16_e64 v1, v66, v198
	s_delay_alu instid0(VALU_DEP_2) | instskip(NEXT) | instid1(VALU_DEP_2)
	v_mul_f16_e64 v3, v67, v145
	v_fmac_f16_e64 v1, v0, v238
	v_mul_f16_e64 v0, v0, v198
	s_delay_alu instid0(VALU_DEP_3) | instskip(SKIP_1) | instid1(VALU_DEP_3)
	v_fmac_f16_e32 v3, v2, v71
	v_mul_f16_e64 v2, v2, v145
	v_fma_f16 v0, v66, v238, -v0
	s_delay_alu instid0(VALU_DEP_2)
	v_fma_f16 v2, v67, v71, -v2
	ds_load_2addr_b32 v[66:67], v125 offset1:96
	s_clause 0x8
	global_load_b32 v199, v[53:54], off offset:2840
	global_load_b32 v80, v125, s[6:7] offset:3608
	global_load_b32 v73, v125, s[6:7] offset:3992
	global_load_b32 v172, v[41:42], off offset:280
	global_load_b32 v114, v[41:42], off offset:664
	global_load_b32 v103, v[41:42], off offset:1048
	global_load_b32 v185, v[41:42], off offset:1240
	global_load_b32 v188, v[41:42], off offset:856
	global_load_b32 v189, v[41:42], off offset:472
	s_waitcnt lgkmcnt(0)
	v_sub_f16_e32 v6, v67, v2
	v_lshrrev_b32_e32 v2, 16, v66
	v_lshrrev_b32_e32 v4, 16, v67
	v_sub_f16_e32 v0, v66, v0
	s_delay_alu instid0(VALU_DEP_4) | instskip(NEXT) | instid1(VALU_DEP_4)
	v_fma_f16 v7, v67, 2.0, -v6
	v_sub_f16_e32 v1, v2, v1
	s_delay_alu instid0(VALU_DEP_4) | instskip(NEXT) | instid1(VALU_DEP_4)
	v_sub_f16_e32 v10, v4, v3
	v_fma_f16 v5, v66, 2.0, -v0
	s_delay_alu instid0(VALU_DEP_3) | instskip(SKIP_1) | instid1(VALU_DEP_4)
	v_fma_f16 v2, v2, 2.0, -v1
	v_pack_b32_f16 v9, v0, v1
	v_fma_f16 v0, v4, 2.0, -v10
	v_pack_b32_f16 v6, v6, v10
	s_delay_alu instid0(VALU_DEP_4) | instskip(NEXT) | instid1(VALU_DEP_3)
	v_pack_b32_f16 v8, v5, v2
	v_pack_b32_f16 v7, v7, v0
	ds_load_2addr_b32 v[53:54], v137 offset0:64 offset1:160
	ds_load_2addr_b32 v[66:67], v124 offset0:64 offset1:160
	;; [unrolled: 1-line block ×6, first 2 shown]
	ds_load_2addr_b32 v[155:156], v135 offset1:96
	ds_load_2addr_b32 v[157:158], v118 offset1:96
	ds_load_2addr_b32 v[159:160], v98 offset0:64 offset1:160
	ds_load_2addr_b32 v[0:1], v110 offset0:64 offset1:160
	;; [unrolled: 1-line block ×4, first 2 shown]
	s_waitcnt vmcnt(0) lgkmcnt(0)
	s_barrier
	buffer_gl0_inv
	ds_store_b32 v125, v9 offset:2880
	ds_store_2addr_b32 v125, v8, v7 offset1:96
	v_lshrrev_b32_e32 v7, 16, v68
	v_lshrrev_b32_e32 v12, 16, v155
	;; [unrolled: 1-line block ×9, first 2 shown]
	v_mul_f16_e32 v8, v7, v77
	v_mul_f16_e32 v9, v68, v77
	v_lshrrev_b32_e32 v221, 16, v189
	v_lshrrev_b32_e32 v225, 16, v188
	;; [unrolled: 1-line block ×3, first 2 shown]
	v_fma_f16 v8, v68, v80, -v8
	v_fmac_f16_e32 v9, v7, v80
	s_delay_alu instid0(VALU_DEP_2) | instskip(SKIP_1) | instid1(VALU_DEP_1)
	v_sub_f16_e32 v7, v53, v8
	v_lshrrev_b32_e32 v8, 16, v53
	v_sub_f16_e32 v9, v8, v9
	s_delay_alu instid0(VALU_DEP_1)
	v_pack_b32_f16 v10, v7, v9
	v_fma_f16 v7, v53, 2.0, -v7
	ds_store_2addr_b32 v135, v6, v10 offset0:48 offset1:144
	v_fma_f16 v6, v8, 2.0, -v9
	v_lshrrev_b32_e32 v8, 16, v66
	v_mul_f16_e32 v9, v66, v78
	v_lshrrev_b32_e32 v10, 16, v54
	s_delay_alu instid0(VALU_DEP_4) | instskip(NEXT) | instid1(VALU_DEP_3)
	v_pack_b32_f16 v6, v7, v6
	v_fmac_f16_e32 v9, v8, v73
	v_mul_f16_e32 v8, v8, v78
	s_delay_alu instid0(VALU_DEP_2) | instskip(NEXT) | instid1(VALU_DEP_2)
	v_sub_f16_e32 v7, v10, v9
	v_fma_f16 v8, v66, v73, -v8
	s_delay_alu instid0(VALU_DEP_2) | instskip(NEXT) | instid1(VALU_DEP_2)
	v_fma_f16 v9, v10, 2.0, -v7
	v_sub_f16_e32 v8, v54, v8
	v_mul_f16_e64 v10, v67, v150
	s_delay_alu instid0(VALU_DEP_2) | instskip(NEXT) | instid1(VALU_DEP_1)
	v_fma_f16 v11, v54, 2.0, -v8
	v_pack_b32_f16 v9, v11, v9
	ds_store_2addr_b32 v137, v6, v9 offset0:64 offset1:160
	v_lshrrev_b32_e32 v6, 16, v67
	s_delay_alu instid0(VALU_DEP_1) | instskip(SKIP_3) | instid1(VALU_DEP_4)
	v_mul_f16_e64 v9, v6, v150
	v_fmac_f16_e64 v10, v6, v172
	v_pack_b32_f16 v6, v8, v7
	v_lshrrev_b32_e32 v8, 16, v99
	v_fma_f16 v9, v67, v172, -v9
	s_delay_alu instid0(VALU_DEP_1) | instskip(NEXT) | instid1(VALU_DEP_3)
	v_sub_f16_e32 v7, v99, v9
	v_sub_f16_e32 v9, v8, v10
	s_delay_alu instid0(VALU_DEP_1)
	v_pack_b32_f16 v10, v7, v9
	v_fma_f16 v7, v99, 2.0, -v7
	ds_store_2addr_b32 v98, v6, v10 offset0:112 offset1:208
	v_fma_f16 v6, v8, 2.0, -v9
	v_lshrrev_b32_e32 v8, 16, v111
	v_mul_f16_e32 v9, v111, v91
	v_lshrrev_b32_e32 v10, 16, v100
	s_delay_alu instid0(VALU_DEP_4) | instskip(NEXT) | instid1(VALU_DEP_3)
	v_pack_b32_f16 v6, v7, v6
	v_fmac_f16_e32 v9, v8, v114
	v_mul_f16_e32 v8, v8, v91
	s_delay_alu instid0(VALU_DEP_2) | instskip(NEXT) | instid1(VALU_DEP_2)
	v_sub_f16_e32 v7, v10, v9
	v_fma_f16 v8, v111, v114, -v8
	s_delay_alu instid0(VALU_DEP_2) | instskip(NEXT) | instid1(VALU_DEP_2)
	v_fma_f16 v9, v10, 2.0, -v7
	v_sub_f16_e32 v8, v100, v8
	v_mul_f16_e32 v10, v112, v92
	s_delay_alu instid0(VALU_DEP_2) | instskip(NEXT) | instid1(VALU_DEP_1)
	v_fma_f16 v11, v100, 2.0, -v8
	v_pack_b32_f16 v9, v11, v9
	v_mul_f16_e64 v11, v154, v212
	ds_store_2addr_b32 v107, v6, v9 offset0:128 offset1:224
	v_lshrrev_b32_e32 v6, 16, v112
	s_delay_alu instid0(VALU_DEP_1) | instskip(SKIP_3) | instid1(VALU_DEP_4)
	v_mul_f16_e32 v9, v6, v92
	v_fmac_f16_e32 v10, v6, v103
	v_pack_b32_f16 v6, v8, v7
	v_lshrrev_b32_e32 v7, 16, v115
	v_fma_f16 v9, v112, v103, -v9
	s_delay_alu instid0(VALU_DEP_2) | instskip(NEXT) | instid1(VALU_DEP_2)
	v_sub_f16_e32 v8, v7, v10
	v_sub_f16_e32 v9, v115, v9
	s_delay_alu instid0(VALU_DEP_2) | instskip(NEXT) | instid1(VALU_DEP_2)
	v_fma_f16 v7, v7, 2.0, -v8
	v_fma_f16 v10, v115, 2.0, -v9
	v_pack_b32_f16 v8, v9, v8
	s_delay_alu instid0(VALU_DEP_2)
	v_pack_b32_f16 v7, v10, v7
	ds_store_b32 v125, v7 offset:2304
	ds_store_2addr_b32 v22, v6, v8 offset0:48 offset1:144
	v_cndmask_b32_e64 v6, 0, 0x5a0, vcc_lo
	v_mul_f16_e64 v10, v153, v213
	v_lshrrev_b32_e32 v8, 16, v154
	s_delay_alu instid0(VALU_DEP_3) | instskip(SKIP_1) | instid1(VALU_DEP_3)
	v_add_lshl_u32 v204, v52, v6, 2
	v_lshrrev_b32_e32 v6, 16, v153
	v_mul_f16_e64 v9, v8, v212
	v_fmac_f16_e64 v11, v8, v191
	s_delay_alu instid0(VALU_DEP_3) | instskip(SKIP_1) | instid1(VALU_DEP_4)
	v_mul_f16_e64 v7, v6, v213
	v_fmac_f16_e64 v10, v6, v199
	v_fma_f16 v9, v154, v191, -v9
	s_delay_alu instid0(VALU_DEP_3) | instskip(NEXT) | instid1(VALU_DEP_2)
	v_fma_f16 v7, v153, v199, -v7
	v_sub_f16_e64 v9, v155, v9
	s_delay_alu instid0(VALU_DEP_2) | instskip(SKIP_1) | instid1(VALU_DEP_3)
	v_sub_f16_e32 v6, v116, v7
	v_lshrrev_b32_e32 v7, 16, v116
	v_fma_f16 v14, v155, 2.0, -v9
	s_delay_alu instid0(VALU_DEP_3) | instskip(NEXT) | instid1(VALU_DEP_3)
	v_fma_f16 v8, v116, 2.0, -v6
	v_sub_f16_e32 v10, v7, v10
	s_delay_alu instid0(VALU_DEP_1) | instskip(SKIP_2) | instid1(VALU_DEP_3)
	v_fma_f16 v7, v7, 2.0, -v10
	v_pack_b32_f16 v6, v6, v10
	v_mul_f16_e64 v10, v157, v209
	v_pack_b32_f16 v7, v8, v7
	v_lshrrev_b32_e32 v8, 16, v157
	ds_store_b32 v204, v7
	ds_store_b32 v204, v6 offset:2880
	v_fmac_f16_e64 v10, v8, v186
	v_mul_f16_e64 v8, v8, v209
	v_sub_f16_e32 v6, v12, v11
	s_delay_alu instid0(VALU_DEP_3) | instskip(NEXT) | instid1(VALU_DEP_3)
	v_sub_f16_e32 v10, v13, v10
	v_fma_f16 v8, v157, v186, -v8
	s_delay_alu instid0(VALU_DEP_3)
	v_fma_f16 v7, v12, 2.0, -v6
	v_add_nc_u32_e32 v12, 0x1600, v125
	v_pack_b32_f16 v6, v9, v6
	v_fma_f16 v11, v13, 2.0, -v10
	v_sub_f16_e64 v8, v156, v8
	v_pack_b32_f16 v7, v14, v7
	v_mov_b32_e32 v27, v12
	s_delay_alu instid0(VALU_DEP_3) | instskip(NEXT) | instid1(VALU_DEP_1)
	v_fma_f16 v15, v156, 2.0, -v8
	v_pack_b32_f16 v11, v15, v11
	ds_store_2addr_b32 v12, v7, v11 offset0:80 offset1:176
	v_lshrrev_b32_e32 v7, 16, v158
	v_mul_f16_e64 v12, v158, v210
	s_delay_alu instid0(VALU_DEP_2) | instskip(NEXT) | instid1(VALU_DEP_2)
	v_mul_f16_e64 v11, v7, v210
	v_fmac_f16_e64 v12, v7, v183
	v_pack_b32_f16 v7, v8, v10
	v_lshrrev_b32_e32 v10, 16, v159
	s_delay_alu instid0(VALU_DEP_4) | instskip(NEXT) | instid1(VALU_DEP_1)
	v_fma_f16 v11, v158, v183, -v11
	v_sub_f16_e64 v8, v159, v11
	s_delay_alu instid0(VALU_DEP_3) | instskip(NEXT) | instid1(VALU_DEP_1)
	v_sub_f16_e32 v11, v10, v12
	v_pack_b32_f16 v12, v8, v11
	v_fma_f16 v8, v159, 2.0, -v8
	ds_store_2addr_b32 v118, v7, v12 offset1:96
	v_fma_f16 v7, v10, 2.0, -v11
	v_lshrrev_b32_e32 v10, 16, v0
	v_mul_f16_e64 v11, v0, v216
	s_delay_alu instid0(VALU_DEP_3) | instskip(NEXT) | instid1(VALU_DEP_2)
	v_pack_b32_f16 v7, v8, v7
	v_fmac_f16_e64 v11, v10, v182
	v_mul_f16_e64 v10, v10, v216
	s_delay_alu instid0(VALU_DEP_1) | instskip(SKIP_1) | instid1(VALU_DEP_2)
	v_fma_f16 v0, v0, v182, -v10
	v_lshrrev_b32_e32 v10, 16, v160
	v_sub_f16_e64 v0, v160, v0
	s_delay_alu instid0(VALU_DEP_2) | instskip(NEXT) | instid1(VALU_DEP_2)
	v_sub_f16_e32 v8, v10, v11
	v_fma_f16 v12, v160, 2.0, -v0
	s_delay_alu instid0(VALU_DEP_2) | instskip(SKIP_2) | instid1(VALU_DEP_3)
	v_fma_f16 v10, v10, 2.0, -v8
	v_pack_b32_f16 v0, v0, v8
	v_lshrrev_b32_e32 v8, 16, v2
	v_pack_b32_f16 v10, v12, v10
	ds_store_2addr_b32 v95, v7, v10 offset0:144 offset1:240
	v_lshrrev_b32_e32 v7, 16, v1
	s_delay_alu instid0(VALU_DEP_1) | instskip(NEXT) | instid1(VALU_DEP_1)
	v_mul_f16_e64 v10, v7, v221
	v_fma_f16 v10, v1, v189, -v10
	v_mul_f16_e64 v1, v1, v221
	s_delay_alu instid0(VALU_DEP_1) | instskip(NEXT) | instid1(VALU_DEP_3)
	v_fmac_f16_e64 v1, v7, v189
	v_sub_f16_e32 v7, v2, v10
	s_delay_alu instid0(VALU_DEP_2) | instskip(NEXT) | instid1(VALU_DEP_2)
	v_sub_f16_e32 v1, v8, v1
	v_fma_f16 v2, v2, 2.0, -v7
	s_delay_alu instid0(VALU_DEP_2) | instskip(SKIP_4) | instid1(VALU_DEP_3)
	v_pack_b32_f16 v10, v7, v1
	ds_store_2addr_b32 v110, v0, v10 offset0:64 offset1:160
	v_fma_f16 v0, v8, 2.0, -v1
	v_lshrrev_b32_e32 v1, 16, v4
	v_mul_f16_e64 v8, v4, v225
	v_pack_b32_f16 v0, v2, v0
	s_delay_alu instid0(VALU_DEP_2) | instskip(SKIP_1) | instid1(VALU_DEP_1)
	v_fmac_f16_e64 v8, v1, v188
	v_mul_f16_e64 v1, v1, v225
	v_fma_f16 v1, v4, v188, -v1
	v_lshrrev_b32_e32 v4, 16, v3
	s_delay_alu instid0(VALU_DEP_2) | instskip(NEXT) | instid1(VALU_DEP_2)
	v_sub_f16_e32 v1, v3, v1
	v_sub_f16_e32 v2, v4, v8
	s_delay_alu instid0(VALU_DEP_2) | instskip(NEXT) | instid1(VALU_DEP_2)
	v_fma_f16 v3, v3, 2.0, -v1
	v_fma_f16 v4, v4, 2.0, -v2
	v_pack_b32_f16 v1, v1, v2
	s_delay_alu instid0(VALU_DEP_2) | instskip(SKIP_3) | instid1(VALU_DEP_1)
	v_pack_b32_f16 v3, v3, v4
	v_mul_f16_e64 v4, v5, v229
	ds_store_2addr_b32 v119, v0, v3 offset0:80 offset1:176
	v_lshrrev_b32_e32 v0, 16, v5
	v_mul_f16_e64 v3, v0, v229
	v_fmac_f16_e64 v4, v0, v185
	s_delay_alu instid0(VALU_DEP_2) | instskip(NEXT) | instid1(VALU_DEP_1)
	v_fma_f16 v3, v5, v185, -v3
	v_sub_f16_e32 v0, v65, v3
	v_lshrrev_b32_e32 v3, 16, v65
	s_delay_alu instid0(VALU_DEP_2) | instskip(NEXT) | instid1(VALU_DEP_2)
	v_fma_f16 v5, v65, 2.0, -v0
	v_sub_f16_e32 v4, v3, v4
	s_delay_alu instid0(VALU_DEP_1) | instskip(SKIP_1) | instid1(VALU_DEP_2)
	v_fma_f16 v3, v3, 2.0, -v4
	v_pack_b32_f16 v0, v0, v4
	v_pack_b32_f16 v3, v5, v3
	ds_store_2addr_b32 v178, v1, v0 offset0:128 offset1:224
	v_add_co_u32 v0, vcc_lo, 0x2000, v49
	v_add_co_ci_u32_e32 v1, vcc_lo, 0, v50, vcc_lo
	ds_store_2addr_b32 v176, v3, v6 offset0:16 offset1:160
	s_waitcnt lgkmcnt(0)
	s_barrier
	buffer_gl0_inv
	s_clause 0x7
	global_load_b32 v181, v[41:42], off offset:1624
	global_load_b32 v223, v[41:42], off offset:2008
	;; [unrolled: 1-line block ×8, first 2 shown]
	ds_load_2addr_b32 v[13:14], v123 offset0:64 offset1:160
	ds_load_2addr_b32 v[3:4], v95 offset1:96
	ds_load_2addr_b32 v[41:42], v125 offset1:96
	s_waitcnt lgkmcnt(2)
	v_lshrrev_b32_e32 v2, 16, v14
	s_waitcnt lgkmcnt(1)
	v_lshrrev_b32_e32 v6, 16, v3
	;; [unrolled: 2-line block ×3, first 2 shown]
	s_waitcnt vmcnt(7)
	v_lshrrev_b32_e32 v139, 16, v181
	s_waitcnt vmcnt(6)
	v_lshrrev_b32_e32 v89, 16, v223
	;; [unrolled: 2-line block ×5, first 2 shown]
	v_mul_f16_e64 v5, v14, v139
	v_mul_f16_e32 v7, v3, v89
	s_waitcnt vmcnt(2)
	v_lshrrev_b32_e32 v155, 16, v105
	s_waitcnt vmcnt(1)
	v_lshrrev_b32_e32 v159, 16, v174
	;; [unrolled: 2-line block ×3, first 2 shown]
	v_fmac_f16_e64 v5, v2, v181
	v_mul_f16_e64 v2, v2, v139
	v_fmac_f16_e64 v7, v6, v223
	v_mul_f16_e32 v6, v6, v89
	s_delay_alu instid0(VALU_DEP_4) | instskip(NEXT) | instid1(VALU_DEP_4)
	v_sub_f16_e32 v5, v8, v5
	v_fma_f16 v2, v14, v181, -v2
	s_delay_alu instid0(VALU_DEP_3) | instskip(NEXT) | instid1(VALU_DEP_3)
	v_fma_f16 v3, v3, v223, -v6
	v_fma_f16 v6, v8, 2.0, -v5
	s_delay_alu instid0(VALU_DEP_3) | instskip(NEXT) | instid1(VALU_DEP_3)
	v_sub_f16_e32 v2, v41, v2
	v_sub_f16_e32 v14, v42, v3
	s_delay_alu instid0(VALU_DEP_2) | instskip(SKIP_2) | instid1(VALU_DEP_4)
	v_pack_b32_f16 v3, v2, v5
	v_lshrrev_b32_e32 v5, 16, v42
	v_fma_f16 v2, v41, 2.0, -v2
	v_fma_f16 v8, v42, 2.0, -v14
	ds_store_b32 v125, v3 offset:5760
	v_sub_f16_e32 v16, v5, v7
	v_pack_b32_f16 v15, v2, v6
	s_delay_alu instid0(VALU_DEP_2) | instskip(SKIP_1) | instid1(VALU_DEP_2)
	v_fma_f16 v2, v5, 2.0, -v16
	v_pack_b32_f16 v14, v14, v16
	v_pack_b32_f16 v17, v8, v2
	ds_load_2addr_b32 v[41:42], v137 offset0:64 offset1:160
	ds_load_2addr_b32 v[49:50], v124 offset0:64 offset1:160
	ds_load_2addr_b32 v[51:52], v107 offset0:128 offset1:224
	ds_load_2addr_b32 v[53:54], v119 offset0:128 offset1:224
	ds_load_2addr_b32 v[66:67], v136 offset0:64 offset1:160
	ds_load_2addr_b32 v[111:112], v176 offset0:64 offset1:160
	ds_load_2addr_b32 v[115:116], v135 offset1:96
	ds_load_2addr_b32 v[2:3], v118 offset1:96
	ds_load_2addr_b32 v[5:6], v98 offset0:64 offset1:160
	ds_load_2addr_b32 v[7:8], v110 offset0:64 offset1:160
	;; [unrolled: 1-line block ×4, first 2 shown]
	ds_store_2addr_b32 v125, v15, v17 offset1:96
	v_lshrrev_b32_e32 v15, 16, v4
	s_waitcnt lgkmcnt(12)
	v_lshrrev_b32_e32 v16, 16, v41
	s_delay_alu instid0(VALU_DEP_2) | instskip(NEXT) | instid1(VALU_DEP_1)
	v_mul_f16_e32 v17, v15, v70
	v_fma_f16 v17, v4, v127, -v17
	v_mul_f16_e32 v4, v4, v70
	s_delay_alu instid0(VALU_DEP_1) | instskip(NEXT) | instid1(VALU_DEP_3)
	v_fmac_f16_e32 v4, v15, v127
	v_sub_f16_e32 v15, v41, v17
	s_delay_alu instid0(VALU_DEP_2) | instskip(NEXT) | instid1(VALU_DEP_1)
	v_sub_f16_e32 v4, v16, v4
	v_pack_b32_f16 v17, v15, v4
	v_fma_f16 v4, v16, 2.0, -v4
	s_waitcnt lgkmcnt(11)
	v_mul_f16_e32 v16, v49, v88
	v_fma_f16 v15, v41, 2.0, -v15
	ds_store_2addr_b32 v95, v14, v17 offset1:96
	v_lshrrev_b32_e32 v14, 16, v49
	v_lshrrev_b32_e32 v17, 16, v42
	v_pack_b32_f16 v4, v15, v4
	s_delay_alu instid0(VALU_DEP_3) | instskip(SKIP_1) | instid1(VALU_DEP_2)
	v_fmac_f16_e32 v16, v14, v65
	v_mul_f16_e32 v14, v14, v88
	v_sub_f16_e32 v15, v17, v16
	s_delay_alu instid0(VALU_DEP_2) | instskip(NEXT) | instid1(VALU_DEP_2)
	v_fma_f16 v14, v49, v65, -v14
	v_fma_f16 v16, v17, 2.0, -v15
	s_delay_alu instid0(VALU_DEP_2) | instskip(SKIP_1) | instid1(VALU_DEP_2)
	v_sub_f16_e32 v14, v42, v14
	v_mul_f16_e64 v17, v50, v156
	v_fma_f16 v18, v42, 2.0, -v14
	s_delay_alu instid0(VALU_DEP_1) | instskip(SKIP_2) | instid1(VALU_DEP_1)
	v_pack_b32_f16 v16, v18, v16
	ds_store_2addr_b32 v137, v4, v16 offset0:64 offset1:160
	v_lshrrev_b32_e32 v4, 16, v50
	v_mul_f16_e64 v16, v4, v156
	v_fmac_f16_e32 v17, v4, v75
	v_pack_b32_f16 v4, v14, v15
	s_waitcnt lgkmcnt(12)
	v_lshrrev_b32_e32 v15, 16, v51
	v_fma_f16 v16, v50, v75, -v16
	s_delay_alu instid0(VALU_DEP_1) | instskip(NEXT) | instid1(VALU_DEP_3)
	v_sub_f16_e32 v14, v51, v16
	v_sub_f16_e32 v16, v15, v17
	s_delay_alu instid0(VALU_DEP_1)
	v_pack_b32_f16 v17, v14, v16
	v_fma_f16 v14, v51, 2.0, -v14
	ds_store_2addr_b32 v124, v4, v17 offset0:64 offset1:160
	v_fma_f16 v4, v15, 2.0, -v16
	s_waitcnt lgkmcnt(12)
	v_lshrrev_b32_e32 v15, 16, v53
	v_mul_f16_e64 v16, v53, v155
	v_lshrrev_b32_e32 v17, 16, v52
	v_pack_b32_f16 v4, v14, v4
	s_delay_alu instid0(VALU_DEP_3) | instskip(SKIP_1) | instid1(VALU_DEP_2)
	v_fmac_f16_e32 v16, v15, v105
	v_mul_f16_e64 v15, v15, v155
	v_sub_f16_e32 v14, v17, v16
	s_delay_alu instid0(VALU_DEP_2) | instskip(NEXT) | instid1(VALU_DEP_2)
	v_fma_f16 v15, v53, v105, -v15
	v_fma_f16 v16, v17, 2.0, -v14
	s_delay_alu instid0(VALU_DEP_2) | instskip(SKIP_1) | instid1(VALU_DEP_2)
	v_sub_f16_e32 v15, v52, v15
	v_mul_f16_e64 v17, v54, v159
	v_fma_f16 v18, v52, 2.0, -v15
	s_delay_alu instid0(VALU_DEP_1) | instskip(SKIP_2) | instid1(VALU_DEP_1)
	v_pack_b32_f16 v16, v18, v16
	ds_store_2addr_b32 v107, v4, v16 offset0:128 offset1:224
	v_lshrrev_b32_e32 v4, 16, v54
	v_mul_f16_e64 v16, v4, v159
	v_fmac_f16_e64 v17, v4, v174
	v_pack_b32_f16 v4, v15, v14
	s_waitcnt lgkmcnt(12)
	v_lshrrev_b32_e32 v15, 16, v66
	v_fma_f16 v16, v54, v174, -v16
	s_delay_alu instid0(VALU_DEP_1) | instskip(NEXT) | instid1(VALU_DEP_3)
	v_sub_f16_e32 v14, v66, v16
	v_sub_f16_e32 v16, v15, v17
	s_delay_alu instid0(VALU_DEP_1)
	v_pack_b32_f16 v17, v14, v16
	v_fma_f16 v14, v66, 2.0, -v14
	ds_store_2addr_b32 v119, v4, v17 offset0:128 offset1:224
	v_fma_f16 v4, v15, 2.0, -v16
	s_waitcnt lgkmcnt(12)
	v_lshrrev_b32_e32 v15, 16, v111
	v_mul_f16_e64 v16, v111, v157
	v_lshrrev_b32_e32 v17, 16, v67
	v_pack_b32_f16 v4, v14, v4
	s_delay_alu instid0(VALU_DEP_3) | instskip(SKIP_1) | instid1(VALU_DEP_2)
	v_fmac_f16_e32 v16, v15, v79
	v_mul_f16_e64 v15, v15, v157
	v_sub_f16_e32 v14, v17, v16
	s_delay_alu instid0(VALU_DEP_2) | instskip(NEXT) | instid1(VALU_DEP_2)
	v_fma_f16 v15, v111, v79, -v15
	v_fma_f16 v16, v17, 2.0, -v14
	s_delay_alu instid0(VALU_DEP_2) | instskip(NEXT) | instid1(VALU_DEP_1)
	v_sub_f16_e32 v15, v67, v15
	v_fma_f16 v18, v67, 2.0, -v15
	s_delay_alu instid0(VALU_DEP_1)
	v_pack_b32_f16 v16, v18, v16
	ds_store_2addr_b32 v136, v4, v16 offset0:64 offset1:160
	s_clause 0x6
	global_load_b32 v158, v[0:1], off offset:600
	global_load_b32 v160, v[0:1], off offset:984
	;; [unrolled: 1-line block ×7, first 2 shown]
	v_lshrrev_b32_e32 v0, 16, v112
	s_waitcnt vmcnt(6)
	v_lshrrev_b32_e32 v111, 16, v158
	s_waitcnt vmcnt(2)
	v_lshrrev_b32_e32 v67, 16, v100
	s_delay_alu instid0(VALU_DEP_2)
	v_mul_f16_e32 v1, v0, v111
	v_mul_f16_e32 v4, v112, v111
	s_waitcnt vmcnt(1)
	v_lshrrev_b32_e32 v68, 16, v101
	s_waitcnt vmcnt(0)
	v_lshrrev_b32_e32 v66, 16, v108
	v_fma_f16 v1, v112, v158, -v1
	v_fmac_f16_e64 v4, v0, v158
	v_pack_b32_f16 v0, v15, v14
	s_waitcnt lgkmcnt(12)
	v_lshrrev_b32_e32 v14, 16, v115
	v_lshrrev_b32_e32 v112, 16, v160
	v_sub_f16_e32 v1, v115, v1
	s_delay_alu instid0(VALU_DEP_3) | instskip(NEXT) | instid1(VALU_DEP_1)
	v_sub_f16_e32 v4, v14, v4
	v_pack_b32_f16 v15, v1, v4
	v_fma_f16 v1, v115, 2.0, -v1
	v_lshrrev_b32_e32 v115, 16, v96
	ds_store_2addr_b32 v176, v0, v15 offset0:64 offset1:160
	v_fma_f16 v0, v14, 2.0, -v4
	s_waitcnt lgkmcnt(12)
	v_lshrrev_b32_e32 v4, 16, v2
	v_mul_f16_e32 v14, v2, v112
	s_delay_alu instid0(VALU_DEP_3) | instskip(NEXT) | instid1(VALU_DEP_2)
	v_pack_b32_f16 v0, v1, v0
	v_fmac_f16_e64 v14, v4, v160
	v_mul_f16_e32 v4, v4, v112
	s_delay_alu instid0(VALU_DEP_1) | instskip(SKIP_1) | instid1(VALU_DEP_2)
	v_fma_f16 v2, v2, v160, -v4
	v_lshrrev_b32_e32 v4, 16, v116
	v_sub_f16_e32 v2, v116, v2
	s_delay_alu instid0(VALU_DEP_2) | instskip(NEXT) | instid1(VALU_DEP_2)
	v_sub_f16_e32 v1, v4, v14
	v_fma_f16 v15, v116, 2.0, -v2
	s_delay_alu instid0(VALU_DEP_2) | instskip(SKIP_1) | instid1(VALU_DEP_2)
	v_fma_f16 v4, v4, 2.0, -v1
	v_lshrrev_b32_e32 v116, 16, v99
	v_pack_b32_f16 v4, v15, v4
	ds_store_2addr_b32 v135, v0, v4 offset1:96
	v_lshrrev_b32_e32 v0, 16, v3
	s_delay_alu instid0(VALU_DEP_1) | instskip(NEXT) | instid1(VALU_DEP_1)
	v_mul_f16_e32 v4, v0, v115
	v_fma_f16 v4, v3, v96, -v4
	v_mul_f16_e32 v3, v3, v115
	s_delay_alu instid0(VALU_DEP_1) | instskip(SKIP_4) | instid1(VALU_DEP_2)
	v_fmac_f16_e32 v3, v0, v96
	v_pack_b32_f16 v0, v2, v1
	s_waitcnt lgkmcnt(12)
	v_lshrrev_b32_e32 v2, 16, v5
	v_sub_f16_e32 v1, v5, v4
	v_sub_f16_e32 v3, v2, v3
	s_delay_alu instid0(VALU_DEP_1)
	v_pack_b32_f16 v4, v1, v3
	v_fma_f16 v1, v5, 2.0, -v1
	ds_store_2addr_b32 v118, v0, v4 offset1:96
	v_fma_f16 v0, v2, 2.0, -v3
	s_waitcnt lgkmcnt(12)
	v_lshrrev_b32_e32 v2, 16, v7
	v_mul_f16_e32 v3, v7, v116
	v_lshrrev_b32_e32 v4, 16, v6
	v_pack_b32_f16 v0, v1, v0
	s_delay_alu instid0(VALU_DEP_3) | instskip(SKIP_1) | instid1(VALU_DEP_2)
	v_fmac_f16_e32 v3, v2, v99
	v_mul_f16_e32 v2, v2, v116
	v_sub_f16_e32 v1, v4, v3
	s_delay_alu instid0(VALU_DEP_2) | instskip(NEXT) | instid1(VALU_DEP_2)
	v_fma_f16 v2, v7, v99, -v2
	v_fma_f16 v3, v4, 2.0, -v1
	s_delay_alu instid0(VALU_DEP_2) | instskip(SKIP_1) | instid1(VALU_DEP_2)
	v_sub_f16_e32 v2, v6, v2
	v_mul_f16_e32 v4, v8, v67
	v_fma_f16 v5, v6, 2.0, -v2
	s_delay_alu instid0(VALU_DEP_1) | instskip(SKIP_2) | instid1(VALU_DEP_1)
	v_pack_b32_f16 v3, v5, v3
	ds_store_2addr_b32 v98, v0, v3 offset0:64 offset1:160
	v_lshrrev_b32_e32 v0, 16, v8
	v_mul_f16_e32 v3, v0, v67
	v_fmac_f16_e32 v4, v0, v100
	v_pack_b32_f16 v0, v2, v1
	s_waitcnt lgkmcnt(12)
	v_lshrrev_b32_e32 v2, 16, v9
	v_fma_f16 v3, v8, v100, -v3
	s_delay_alu instid0(VALU_DEP_1) | instskip(NEXT) | instid1(VALU_DEP_3)
	v_sub_f16_e32 v1, v9, v3
	v_sub_f16_e32 v3, v2, v4
	s_delay_alu instid0(VALU_DEP_1)
	v_pack_b32_f16 v4, v1, v3
	v_fma_f16 v1, v9, 2.0, -v1
	ds_store_2addr_b32 v110, v0, v4 offset0:64 offset1:160
	v_fma_f16 v0, v2, 2.0, -v3
	s_waitcnt lgkmcnt(12)
	v_lshrrev_b32_e32 v2, 16, v11
	v_mul_f16_e32 v3, v11, v68
	v_lshrrev_b32_e32 v4, 16, v10
	v_pack_b32_f16 v0, v1, v0
	s_delay_alu instid0(VALU_DEP_3) | instskip(SKIP_1) | instid1(VALU_DEP_2)
	v_fmac_f16_e32 v3, v2, v101
	v_mul_f16_e32 v2, v2, v68
	v_sub_f16_e32 v1, v4, v3
	s_delay_alu instid0(VALU_DEP_2) | instskip(NEXT) | instid1(VALU_DEP_2)
	v_fma_f16 v2, v11, v101, -v2
	v_fma_f16 v3, v4, 2.0, -v1
	s_delay_alu instid0(VALU_DEP_2) | instskip(SKIP_1) | instid1(VALU_DEP_2)
	v_sub_f16_e32 v2, v10, v2
	v_mul_f16_e32 v4, v12, v66
	v_fma_f16 v5, v10, 2.0, -v2
	v_pack_b32_f16 v1, v2, v1
	s_delay_alu instid0(VALU_DEP_2) | instskip(SKIP_2) | instid1(VALU_DEP_1)
	v_pack_b32_f16 v3, v5, v3
	ds_store_2addr_b32 v134, v0, v3 offset0:128 offset1:224
	v_lshrrev_b32_e32 v0, 16, v12
	v_mul_f16_e32 v3, v0, v66
	v_fmac_f16_e32 v4, v0, v108
	s_delay_alu instid0(VALU_DEP_2) | instskip(NEXT) | instid1(VALU_DEP_1)
	v_fma_f16 v3, v12, v108, -v3
	v_sub_f16_e32 v0, v13, v3
	v_lshrrev_b32_e32 v3, 16, v13
	s_delay_alu instid0(VALU_DEP_2) | instskip(NEXT) | instid1(VALU_DEP_2)
	v_fma_f16 v5, v13, 2.0, -v0
	v_sub_f16_e32 v2, v3, v4
	s_delay_alu instid0(VALU_DEP_1) | instskip(SKIP_2) | instid1(VALU_DEP_1)
	v_pack_b32_f16 v0, v0, v2
	ds_store_2addr_b32 v178, v1, v0 offset0:128 offset1:224
	v_fma_f16 v0, v3, 2.0, -v2
	v_pack_b32_f16 v0, v5, v0
	ds_store_b32 v125, v0 offset:5376
	s_waitcnt lgkmcnt(0)
	s_barrier
	buffer_gl0_inv
	s_clause 0x5
	global_load_b32 v41, v125, s[2:3]
	global_load_b32 v9, v125, s[2:3] offset:384
	global_load_b32 v11, v125, s[2:3] offset:1536
	;; [unrolled: 1-line block ×5, first 2 shown]
	ds_load_2addr_b32 v[0:1], v125 offset1:96
	s_waitcnt lgkmcnt(0)
	v_lshrrev_b32_e32 v3, 16, v0
	s_waitcnt vmcnt(5)
	v_lshrrev_b32_e32 v2, 16, v41
	s_delay_alu instid0(VALU_DEP_1) | instskip(NEXT) | instid1(VALU_DEP_3)
	v_mul_f16_e32 v4, v0, v2
	v_mul_f16_e32 v2, v3, v2
	s_delay_alu instid0(VALU_DEP_2) | instskip(NEXT) | instid1(VALU_DEP_2)
	v_fmac_f16_e32 v4, v3, v41
	v_fma_f16 v0, v0, v41, -v2
	s_delay_alu instid0(VALU_DEP_1) | instskip(SKIP_2) | instid1(VALU_DEP_1)
	v_pack_b32_f16 v0, v0, v4
	ds_store_b32 v125, v0
	v_add_co_u32 v0, s4, s2, v125
	v_add_co_ci_u32_e64 v5, null, s3, 0, s4
	s_delay_alu instid0(VALU_DEP_2) | instskip(NEXT) | instid1(VALU_DEP_2)
	v_add_co_u32 v14, vcc_lo, 0x1000, v0
	v_add_co_ci_u32_e32 v15, vcc_lo, 0, v5, vcc_lo
	v_add_co_u32 v19, vcc_lo, 0x2000, v0
	s_clause 0x1
	global_load_b32 v0, v[14:15], off offset:3968
	global_load_b32 v16, v[14:15], off offset:3200
	ds_load_2addr_b32 v[6:7], v119 offset0:128 offset1:224
	v_add_co_ci_u32_e32 v20, vcc_lo, 0, v5, vcc_lo
	s_waitcnt lgkmcnt(0)
	v_lshrrev_b32_e32 v10, 16, v7
	s_waitcnt vmcnt(1)
	v_lshrrev_b32_e32 v8, 16, v0
	s_delay_alu instid0(VALU_DEP_1) | instskip(NEXT) | instid1(VALU_DEP_3)
	v_mul_f16_e32 v12, v7, v8
	v_mul_f16_e32 v8, v10, v8
	s_delay_alu instid0(VALU_DEP_2)
	v_fmac_f16_e32 v12, v10, v0
	s_clause 0x4
	global_load_b32 v10, v[19:20], off offset:256
	global_load_b32 v17, v[19:20], off offset:640
	;; [unrolled: 1-line block ×5, first 2 shown]
	v_fma_f16 v0, v7, v0, -v8
	ds_load_2addr_b32 v[7:8], v176 offset0:64 offset1:160
	v_pack_b32_f16 v0, v0, v12
	s_waitcnt lgkmcnt(0)
	v_lshrrev_b32_e32 v41, 16, v7
	s_waitcnt vmcnt(4)
	v_lshrrev_b32_e32 v21, 16, v10
	s_delay_alu instid0(VALU_DEP_1) | instskip(NEXT) | instid1(VALU_DEP_3)
	v_mul_f16_e32 v42, v7, v21
	v_mul_f16_e32 v21, v41, v21
	s_delay_alu instid0(VALU_DEP_2) | instskip(NEXT) | instid1(VALU_DEP_2)
	v_fmac_f16_e32 v42, v41, v10
	v_fma_f16 v7, v7, v10, -v21
	v_add_nc_u32_e32 v10, 0x1e00, v125
	s_delay_alu instid0(VALU_DEP_2) | instskip(SKIP_4) | instid1(VALU_DEP_1)
	v_pack_b32_f16 v7, v7, v42
	ds_store_2addr_b32 v10, v0, v7 offset0:96 offset1:192
	v_lshrrev_b32_e32 v0, 16, v8
	s_waitcnt vmcnt(3)
	v_lshrrev_b32_e32 v7, 16, v17
	v_mul_f16_e32 v10, v0, v7
	v_mul_f16_e32 v12, v8, v7
	s_delay_alu instid0(VALU_DEP_2) | instskip(NEXT) | instid1(VALU_DEP_2)
	v_fma_f16 v10, v8, v17, -v10
	v_fmac_f16_e32 v12, v0, v17
	s_clause 0x4
	global_load_b32 v0, v43, s[2:3]
	global_load_b32 v17, v47, s[2:3]
	;; [unrolled: 1-line block ×5, first 2 shown]
	ds_load_2addr_b32 v[7:8], v118 offset1:96
	ds_load_2addr_b32 v[3:4], v137 offset0:64 offset1:160
	s_waitcnt lgkmcnt(1)
	v_lshrrev_b32_e32 v42, 16, v7
	s_waitcnt vmcnt(4)
	v_lshrrev_b32_e32 v41, 16, v0
	s_delay_alu instid0(VALU_DEP_1) | instskip(NEXT) | instid1(VALU_DEP_3)
	v_mul_f16_e32 v44, v7, v41
	v_mul_f16_e32 v41, v42, v41
	s_delay_alu instid0(VALU_DEP_2) | instskip(NEXT) | instid1(VALU_DEP_2)
	v_fmac_f16_e32 v44, v42, v0
	v_fma_f16 v0, v7, v0, -v41
	v_pack_b32_f16 v7, v10, v12
	v_add_nc_u32_e32 v10, 0x2200, v125
	s_waitcnt lgkmcnt(0)
	v_lshrrev_b32_e32 v12, 16, v4
	v_pack_b32_f16 v0, v0, v44
	ds_store_2addr_b32 v10, v7, v0 offset0:32 offset1:128
	v_lshrrev_b32_e32 v0, 16, v1
	v_lshrrev_b32_e32 v7, 16, v9
	s_delay_alu instid0(VALU_DEP_1) | instskip(SKIP_1) | instid1(VALU_DEP_2)
	v_mul_f16_e32 v10, v0, v7
	v_mul_f16_e32 v7, v1, v7
	v_fma_f16 v44, v1, v9, -v10
	s_delay_alu instid0(VALU_DEP_2) | instskip(SKIP_3) | instid1(VALU_DEP_1)
	v_fmac_f16_e32 v7, v0, v9
	global_load_b32 v9, v125, s[2:3] offset:1152
	s_waitcnt vmcnt(0)
	v_lshrrev_b32_e32 v10, 16, v9
	v_mul_f16_e32 v41, v4, v10
	v_mul_f16_e32 v10, v12, v10
	s_delay_alu instid0(VALU_DEP_2) | instskip(NEXT) | instid1(VALU_DEP_2)
	v_fmac_f16_e32 v41, v12, v9
	v_fma_f16 v1, v4, v9, -v10
	ds_load_2addr_b32 v[9:10], v107 offset0:128 offset1:224
	v_lshrrev_b32_e32 v12, 16, v11
	v_pack_b32_f16 v1, v1, v41
	s_waitcnt lgkmcnt(0)
	v_lshrrev_b32_e32 v42, 16, v9
	s_delay_alu instid0(VALU_DEP_3) | instskip(NEXT) | instid1(VALU_DEP_2)
	v_mul_f16_e32 v46, v9, v12
	v_mul_f16_e32 v12, v42, v12
	s_delay_alu instid0(VALU_DEP_2) | instskip(NEXT) | instid1(VALU_DEP_2)
	v_fmac_f16_e32 v46, v42, v11
	v_fma_f16 v9, v9, v11, -v12
	ds_load_2addr_b32 v[11:12], v136 offset0:64 offset1:160
	v_pack_b32_f16 v9, v9, v46
	ds_store_2addr_b32 v107, v1, v9 offset0:32 offset1:128
	global_load_b32 v1, v125, s[2:3] offset:2304
	s_waitcnt lgkmcnt(1)
	v_lshrrev_b32_e32 v41, 16, v11
	s_waitcnt vmcnt(0)
	v_lshrrev_b32_e32 v9, 16, v1
	s_delay_alu instid0(VALU_DEP_1) | instskip(NEXT) | instid1(VALU_DEP_3)
	v_mul_f16_e32 v46, v11, v9
	v_mul_f16_e32 v9, v41, v9
	s_delay_alu instid0(VALU_DEP_2) | instskip(NEXT) | instid1(VALU_DEP_2)
	v_fmac_f16_e32 v46, v41, v1
	v_fma_f16 v9, v11, v1, -v9
	v_lshrrev_b32_e32 v1, 16, v12
	v_lshrrev_b32_e32 v11, 16, v13
	s_delay_alu instid0(VALU_DEP_1) | instskip(SKIP_1) | instid1(VALU_DEP_2)
	v_mul_f16_e32 v41, v1, v11
	v_mul_f16_e32 v47, v12, v11
	v_fma_f16 v48, v12, v13, -v41
	s_delay_alu instid0(VALU_DEP_2)
	v_fmac_f16_e32 v47, v1, v13
	s_clause 0x2
	global_load_b32 v1, v125, s[2:3] offset:3456
	global_load_b32 v41, v125, s[2:3] offset:3840
	;; [unrolled: 1-line block ×3, first 2 shown]
	ds_load_2addr_b32 v[11:12], v135 offset1:96
	s_waitcnt lgkmcnt(0)
	v_lshrrev_b32_e32 v42, 16, v12
	s_waitcnt vmcnt(2)
	v_lshrrev_b32_e32 v13, 16, v1
	s_delay_alu instid0(VALU_DEP_1) | instskip(NEXT) | instid1(VALU_DEP_3)
	v_mul_f16_e32 v50, v12, v13
	v_mul_f16_e32 v13, v42, v13
	s_delay_alu instid0(VALU_DEP_2) | instskip(NEXT) | instid1(VALU_DEP_2)
	v_fmac_f16_e32 v50, v42, v1
	v_fma_f16 v1, v12, v1, -v13
	ds_load_2addr_b32 v[12:13], v98 offset0:64 offset1:160
	s_waitcnt vmcnt(1)
	v_lshrrev_b32_e32 v42, 16, v41
	v_pack_b32_f16 v1, v1, v50
	s_waitcnt lgkmcnt(0)
	v_lshrrev_b32_e32 v51, 16, v12
	s_delay_alu instid0(VALU_DEP_3) | instskip(NEXT) | instid1(VALU_DEP_2)
	v_mul_f16_e32 v52, v12, v42
	v_mul_f16_e32 v42, v51, v42
	s_delay_alu instid0(VALU_DEP_2) | instskip(NEXT) | instid1(VALU_DEP_2)
	v_fmac_f16_e32 v52, v51, v41
	v_fma_f16 v12, v12, v41, -v42
	ds_load_2addr_b32 v[41:42], v134 offset0:128 offset1:224
	v_pack_b32_f16 v12, v12, v52
	ds_store_2addr_b32 v135, v1, v12 offset0:96 offset1:192
	v_lshrrev_b32_e32 v1, 16, v43
	s_waitcnt lgkmcnt(1)
	v_lshrrev_b32_e32 v12, 16, v41
	s_delay_alu instid0(VALU_DEP_2) | instskip(NEXT) | instid1(VALU_DEP_2)
	v_mul_f16_e32 v50, v41, v1
	v_mul_f16_e32 v1, v12, v1
	s_delay_alu instid0(VALU_DEP_2) | instskip(NEXT) | instid1(VALU_DEP_2)
	v_fmac_f16_e32 v50, v12, v43
	v_fma_f16 v12, v41, v43, -v1
	global_load_b32 v1, v[14:15], off offset:896
	v_lshrrev_b32_e32 v41, 16, v42
	s_clause 0x2
	global_load_b32 v51, v[14:15], off offset:2432
	global_load_b32 v52, v[14:15], off offset:1280
	;; [unrolled: 1-line block ×3, first 2 shown]
	s_waitcnt vmcnt(3)
	v_lshrrev_b32_e32 v43, 16, v1
	s_delay_alu instid0(VALU_DEP_1) | instskip(SKIP_1) | instid1(VALU_DEP_2)
	v_mul_f16_e32 v54, v41, v43
	v_mul_f16_e64 v153, v42, v43
	v_fma_f16 v54, v42, v1, -v54
	s_delay_alu instid0(VALU_DEP_2)
	v_fmac_f16_e64 v153, v41, v1
	global_load_b32 v1, v[14:15], off offset:1664
	ds_load_2addr_b32 v[41:42], v123 offset0:64 offset1:160
	s_waitcnt lgkmcnt(0)
	v_lshrrev_b32_e32 v154, 16, v42
	s_waitcnt vmcnt(0)
	v_lshrrev_b32_e32 v43, 16, v1
	s_delay_alu instid0(VALU_DEP_1) | instskip(NEXT) | instid1(VALU_DEP_3)
	v_mul_f16_e32 v0, v42, v43
	v_mul_f16_e64 v2, v154, v43
	s_delay_alu instid0(VALU_DEP_2) | instskip(NEXT) | instid1(VALU_DEP_2)
	v_fmac_f16_e64 v0, v154, v1
	v_fma_f16 v1, v42, v1, -v2
	ds_load_2addr_b32 v[42:43], v95 offset1:96
	v_lshrrev_b32_e32 v2, 16, v17
	v_pack_b32_f16 v0, v1, v0
	s_waitcnt lgkmcnt(0)
	v_lshrrev_b32_e32 v4, 16, v42
	s_delay_alu instid0(VALU_DEP_3) | instskip(NEXT) | instid1(VALU_DEP_2)
	v_mul_f16_e32 v26, v42, v2
	v_mul_f16_e32 v2, v4, v2
	s_delay_alu instid0(VALU_DEP_2) | instskip(NEXT) | instid1(VALU_DEP_2)
	v_fmac_f16_e32 v26, v4, v17
	v_fma_f16 v2, v42, v17, -v2
	s_delay_alu instid0(VALU_DEP_1)
	v_pack_b32_f16 v1, v2, v26
	ds_store_2addr_b32 v27, v0, v1 offset0:32 offset1:128
	global_load_b32 v0, v[14:15], off offset:2816
	ds_load_2addr_b32 v[1:2], v124 offset0:64 offset1:160
	s_waitcnt lgkmcnt(0)
	v_lshrrev_b32_e32 v14, 16, v1
	s_waitcnt vmcnt(0)
	v_lshrrev_b32_e32 v4, 16, v0
	s_delay_alu instid0(VALU_DEP_1) | instskip(NEXT) | instid1(VALU_DEP_3)
	v_mul_f16_e32 v15, v1, v4
	v_mul_f16_e32 v4, v14, v4
	s_delay_alu instid0(VALU_DEP_2) | instskip(NEXT) | instid1(VALU_DEP_2)
	v_fmac_f16_e32 v15, v14, v0
	v_fma_f16 v4, v1, v0, -v4
	v_lshrrev_b32_e32 v0, 16, v2
	v_lshrrev_b32_e32 v1, 16, v16
	s_delay_alu instid0(VALU_DEP_1) | instskip(SKIP_2) | instid1(VALU_DEP_3)
	v_mul_f16_e32 v14, v0, v1
	v_mul_f16_e32 v17, v2, v1
	v_lshrrev_b32_e32 v1, 16, v18
	v_fma_f16 v14, v2, v16, -v14
	s_delay_alu instid0(VALU_DEP_3) | instskip(SKIP_1) | instid1(VALU_DEP_4)
	v_fmac_f16_e32 v17, v0, v16
	v_lshrrev_b32_e32 v0, 16, v8
	v_mul_f16_e32 v16, v8, v1
	s_delay_alu instid0(VALU_DEP_2) | instskip(NEXT) | instid1(VALU_DEP_2)
	v_mul_f16_e32 v2, v0, v1
	v_fmac_f16_e32 v16, v0, v18
	v_lshrrev_b32_e32 v0, 16, v3
	v_lshrrev_b32_e32 v1, 16, v24
	s_delay_alu instid0(VALU_DEP_4) | instskip(NEXT) | instid1(VALU_DEP_2)
	v_fma_f16 v8, v8, v18, -v2
	v_mul_f16_e32 v2, v0, v1
	v_mul_f16_e32 v18, v3, v1
	s_delay_alu instid0(VALU_DEP_2)
	v_fma_f16 v3, v3, v24, -v2
	global_load_b32 v2, v[19:20], off offset:2176
	v_fmac_f16_e32 v18, v0, v24
	ds_load_2addr_b32 v[0:1], v110 offset0:64 offset1:160
	v_pack_b32_f16 v3, v3, v18
	s_waitcnt lgkmcnt(0)
	v_lshrrev_b32_e32 v20, 16, v1
	s_waitcnt vmcnt(0)
	v_lshrrev_b32_e32 v19, 16, v2
	s_delay_alu instid0(VALU_DEP_1) | instskip(NEXT) | instid1(VALU_DEP_3)
	v_mul_f16_e32 v24, v1, v19
	v_mul_f16_e32 v19, v20, v19
	s_delay_alu instid0(VALU_DEP_2) | instskip(NEXT) | instid1(VALU_DEP_2)
	v_fmac_f16_e32 v24, v20, v2
	v_fma_f16 v19, v1, v2, -v19
	ds_load_2addr_b32 v[1:2], v178 offset0:128 offset1:224
	v_lshrrev_b32_e32 v20, 16, v21
	v_pack_b32_f16 v19, v19, v24
	s_waitcnt lgkmcnt(0)
	v_lshrrev_b32_e32 v26, 16, v1
	s_delay_alu instid0(VALU_DEP_3) | instskip(NEXT) | instid1(VALU_DEP_2)
	v_mul_f16_e32 v27, v1, v20
	v_mul_f16_e32 v20, v26, v20
	s_delay_alu instid0(VALU_DEP_2) | instskip(NEXT) | instid1(VALU_DEP_2)
	v_fmac_f16_e32 v27, v26, v21
	v_fma_f16 v1, v1, v21, -v20
	s_delay_alu instid0(VALU_DEP_1)
	v_pack_b32_f16 v1, v1, v27
	ds_store_2addr_b32 v178, v19, v1 offset0:32 offset1:128
	v_pack_b32_f16 v1, v44, v7
	ds_store_2addr_b32 v125, v1, v3 offset0:96 offset1:192
	v_lshrrev_b32_e32 v1, 16, v10
	v_lshrrev_b32_e32 v3, 16, v22
	s_delay_alu instid0(VALU_DEP_1) | instskip(SKIP_1) | instid1(VALU_DEP_2)
	v_mul_f16_e32 v7, v1, v3
	v_mul_f16_e32 v3, v10, v3
	v_fma_f16 v7, v10, v22, -v7
	s_delay_alu instid0(VALU_DEP_2) | instskip(SKIP_2) | instid1(VALU_DEP_3)
	v_fmac_f16_e32 v3, v1, v22
	v_lshrrev_b32_e32 v1, 16, v11
	v_lshrrev_b32_e32 v10, 16, v49
	v_pack_b32_f16 v3, v7, v3
	s_delay_alu instid0(VALU_DEP_2) | instskip(SKIP_1) | instid1(VALU_DEP_2)
	v_mul_f16_e32 v18, v1, v10
	v_mul_f16_e32 v10, v11, v10
	v_fma_f16 v11, v11, v49, -v18
	s_delay_alu instid0(VALU_DEP_2)
	v_fmac_f16_e32 v10, v1, v49
	v_pack_b32_f16 v1, v9, v46
	v_lshrrev_b32_e32 v9, 16, v52
	ds_store_2addr_b32 v28, v3, v1 offset0:96 offset1:192
	v_pack_b32_f16 v1, v48, v47
	v_pack_b32_f16 v3, v11, v10
	ds_store_2addr_b32 v23, v1, v3 offset0:32 offset1:128
	v_lshrrev_b32_e32 v1, 16, v13
	v_lshrrev_b32_e32 v3, 16, v53
	s_delay_alu instid0(VALU_DEP_1) | instskip(SKIP_1) | instid1(VALU_DEP_2)
	v_mul_f16_e32 v7, v1, v3
	v_mul_f16_e32 v3, v13, v3
	v_fma_f16 v7, v13, v53, -v7
	s_delay_alu instid0(VALU_DEP_2) | instskip(SKIP_1) | instid1(VALU_DEP_2)
	v_fmac_f16_e32 v3, v1, v53
	v_lshrrev_b32_e32 v1, 16, v41
	v_pack_b32_f16 v3, v7, v3
	s_delay_alu instid0(VALU_DEP_2) | instskip(SKIP_1) | instid1(VALU_DEP_2)
	v_mul_f16_e32 v10, v1, v9
	v_mul_f16_e32 v9, v41, v9
	v_fma_f16 v10, v41, v52, -v10
	s_delay_alu instid0(VALU_DEP_2)
	v_fmac_f16_e32 v9, v1, v52
	v_pack_b32_f16 v1, v12, v50
	ds_store_2addr_b32 v134, v3, v1 offset0:32 offset1:128
	v_pack_b32_f16 v1, v54, v153
	v_pack_b32_f16 v3, v10, v9
	v_lshrrev_b32_e32 v9, 16, v45
	ds_store_2addr_b32 v30, v1, v3 offset0:96 offset1:192
	v_lshrrev_b32_e32 v1, 16, v43
	v_lshrrev_b32_e32 v3, 16, v51
	s_delay_alu instid0(VALU_DEP_1) | instskip(SKIP_1) | instid1(VALU_DEP_2)
	v_mul_f16_e32 v7, v1, v3
	v_mul_f16_e32 v3, v43, v3
	v_fma_f16 v7, v43, v51, -v7
	s_delay_alu instid0(VALU_DEP_2) | instskip(SKIP_1) | instid1(VALU_DEP_2)
	v_fmac_f16_e32 v3, v1, v51
	v_lshrrev_b32_e32 v1, 16, v6
	v_pack_b32_f16 v3, v7, v3
	s_delay_alu instid0(VALU_DEP_2) | instskip(SKIP_1) | instid1(VALU_DEP_2)
	v_mul_f16_e32 v10, v1, v9
	v_mul_f16_e32 v9, v6, v9
	v_fma_f16 v6, v6, v45, -v10
	s_delay_alu instid0(VALU_DEP_2)
	v_fmac_f16_e32 v9, v1, v45
	v_pack_b32_f16 v1, v4, v15
	ds_store_2addr_b32 v95, v3, v1 offset0:96 offset1:192
	v_pack_b32_f16 v1, v14, v17
	v_pack_b32_f16 v3, v6, v9
	ds_store_2addr_b32 v119, v1, v3 offset0:32 offset1:128
	v_lshrrev_b32_e32 v1, 16, v0
	v_lshrrev_b32_e32 v3, 16, v25
	s_delay_alu instid0(VALU_DEP_1) | instskip(SKIP_1) | instid1(VALU_DEP_2)
	v_mul_f16_e32 v4, v1, v3
	v_mul_f16_e32 v3, v0, v3
	v_fma_f16 v0, v0, v25, -v4
	s_delay_alu instid0(VALU_DEP_2) | instskip(SKIP_2) | instid1(VALU_DEP_3)
	v_fmac_f16_e32 v3, v1, v25
	v_lshrrev_b32_e32 v1, 16, v2
	v_lshrrev_b32_e32 v4, 16, v5
	v_pack_b32_f16 v0, v0, v3
	s_delay_alu instid0(VALU_DEP_2) | instskip(SKIP_1) | instid1(VALU_DEP_2)
	v_mul_f16_e32 v6, v1, v4
	v_mul_f16_e32 v4, v2, v4
	v_fma_f16 v2, v2, v5, -v6
	s_delay_alu instid0(VALU_DEP_2)
	v_fmac_f16_e32 v4, v1, v5
	v_pack_b32_f16 v1, v8, v16
	ds_store_2addr_b32 v118, v1, v0 offset0:96 offset1:192
	v_pack_b32_f16 v0, v2, v4
	ds_store_b32 v125, v0 offset:11136
	s_waitcnt lgkmcnt(0)
	s_barrier
	buffer_gl0_inv
	ds_load_2addr_b32 v[43:44], v124 offset0:64 offset1:160
	ds_load_2addr_b32 v[41:42], v118 offset1:96
	ds_load_2addr_b32 v[16:17], v136 offset0:64 offset1:160
	ds_load_2addr_b32 v[14:15], v134 offset0:128 offset1:224
	ds_load_2addr_b32 v[20:21], v125 offset1:96
	ds_load_2addr_b32 v[47:48], v119 offset0:128 offset1:224
	ds_load_2addr_b32 v[45:46], v110 offset0:64 offset1:160
	ds_load_2addr_b32 v[51:52], v135 offset1:96
	ds_load_2addr_b32 v[53:54], v123 offset0:64 offset1:160
	ds_load_2addr_b32 v[49:50], v137 offset0:64 offset1:160
	s_waitcnt lgkmcnt(9)
	v_lshrrev_b32_e32 v7, 16, v43
	s_waitcnt lgkmcnt(8)
	v_sub_f16_e32 v0, v43, v41
	s_waitcnt lgkmcnt(6)
	v_sub_f16_e32 v1, v14, v16
	v_lshrrev_b32_e32 v3, 16, v14
	v_lshrrev_b32_e32 v5, 16, v16
	v_lshrrev_b32_e32 v6, 16, v41
	s_waitcnt lgkmcnt(5)
	v_lshrrev_b32_e32 v24, 16, v20
	v_add_f16_e32 v0, v1, v0
	v_add_f16_e32 v1, v16, v41
	v_sub_f16_e32 v28, v3, v7
	v_sub_f16_e32 v23, v5, v6
	;; [unrolled: 1-line block ×4, first 2 shown]
	v_fma_f16 v22, -0.5, v1, v20
	v_sub_f16_e32 v11, v16, v41
	s_waitcnt lgkmcnt(1)
	v_sub_f16_e32 v9, v54, v52
	v_lshrrev_b32_e32 v12, 16, v54
	v_lshrrev_b32_e32 v13, 16, v48
	v_fmamk_f16 v4, v28, 0x3b9c, v22
	v_fmac_f16_e32 v22, 0xbb9c, v28
	v_lshrrev_b32_e32 v27, 16, v52
	v_lshrrev_b32_e32 v153, 16, v46
	v_sub_f16_e32 v26, v12, v13
	v_fmac_f16_e32 v4, 0xb8b4, v23
	v_fmac_f16_e32 v22, 0x38b4, v23
	s_waitcnt lgkmcnt(0)
	v_lshrrev_b32_e32 v19, 16, v50
	v_sub_f16_e64 v154, v27, v153
	v_add_f16_e64 v211, v27, v153
	v_fmac_f16_e32 v4, 0x34f2, v0
	v_fmac_f16_e32 v22, 0x34f2, v0
	v_add_f16_e32 v0, v3, v7
	v_sub_f16_e64 v151, v13, v153
	v_sub_f16_e32 v2, v52, v46
	s_delay_alu instid0(VALU_DEP_3) | instskip(SKIP_1) | instid1(VALU_DEP_1)
	v_fma_f16 v25, -0.5, v0, v24
	v_add_f16_e32 v0, v5, v6
	v_fmac_f16_e32 v24, -0.5, v0
	v_sub_f16_e32 v0, v3, v5
	v_sub_f16_e32 v3, v5, v3
	;; [unrolled: 1-line block ×5, first 2 shown]
	v_add_f16_e32 v0, v0, v8
	v_fmamk_f16 v8, v10, 0xbb9c, v24
	v_fmac_f16_e32 v24, 0x3b9c, v10
	v_add_f16_e32 v3, v3, v5
	v_add_f16_e32 v6, v7, v6
	v_sub_f16_e32 v5, v27, v12
	v_fmac_f16_e32 v8, 0x38b4, v11
	v_fmac_f16_e32 v24, 0xb8b4, v11
	v_sub_f16_e64 v7, v153, v13
	s_delay_alu instid0(VALU_DEP_3) | instskip(NEXT) | instid1(VALU_DEP_3)
	v_fmac_f16_e32 v8, 0x34f2, v0
	v_fmac_f16_e32 v24, 0x34f2, v0
	v_sub_f16_e32 v0, v48, v46
	s_delay_alu instid0(VALU_DEP_4) | instskip(SKIP_1) | instid1(VALU_DEP_3)
	v_add_f16_e32 v5, v5, v7
	v_add_f16_e32 v7, v54, v48
	;; [unrolled: 1-line block ×4, first 2 shown]
	s_delay_alu instid0(VALU_DEP_3) | instskip(NEXT) | instid1(VALU_DEP_2)
	v_fma_f16 v7, -0.5, v7, v50
	v_fma_f16 v9, -0.5, v9, v50
	s_delay_alu instid0(VALU_DEP_1) | instskip(SKIP_1) | instid1(VALU_DEP_2)
	v_fmamk_f16 v18, v26, 0x3b9c, v9
	v_fmac_f16_e32 v9, 0xbb9c, v26
	v_fmac_f16_e64 v18, 0xb8b4, v154
	s_delay_alu instid0(VALU_DEP_2) | instskip(NEXT) | instid1(VALU_DEP_2)
	v_fmac_f16_e64 v9, 0x38b4, v154
	v_fmac_f16_e32 v18, 0x34f2, v0
	s_delay_alu instid0(VALU_DEP_2) | instskip(SKIP_2) | instid1(VALU_DEP_2)
	v_fmac_f16_e32 v9, 0x34f2, v0
	v_add_f16_e32 v0, v12, v13
	v_sub_f16_e32 v13, v52, v54
	v_fma_f16 v1, -0.5, v0, v19
	v_fmac_f16_e64 v19, -0.5, v211
	v_sub_f16_e64 v211, v12, v27
	v_sub_f16_e32 v12, v46, v48
	v_fma_f16 v27, 0xbb9c, v154, v7
	v_fmac_f16_e64 v7, 0x3b9c, v154
	s_delay_alu instid0(VALU_DEP_4)
	v_add_f16_e64 v151, v211, v151
	v_sub_f16_e64 v211, v54, v48
	v_add_f16_e32 v12, v13, v12
	v_fmamk_f16 v13, v2, 0x3b9c, v1
	v_fmac_f16_e32 v27, 0xb8b4, v26
	v_fmac_f16_e32 v1, 0xbb9c, v2
	v_fma_f16 v0, 0xbb9c, v211, v19
	v_fmac_f16_e64 v19, 0x3b9c, v211
	v_fmac_f16_e64 v13, 0x38b4, v211
	v_fmac_f16_e32 v27, 0x34f2, v12
	v_fmac_f16_e64 v1, 0xb8b4, v211
	v_fmac_f16_e32 v0, 0x38b4, v2
	v_fmac_f16_e32 v19, 0xb8b4, v2
	;; [unrolled: 1-line block ×5, first 2 shown]
	v_fmac_f16_e64 v0, 0x34f2, v151
	v_fmac_f16_e64 v19, 0x34f2, v151
	v_mul_f16_e64 v153, 0xb8b4, v13
	v_fmac_f16_e32 v7, 0x34f2, v12
	v_mul_f16_e32 v26, 0xba79, v1
	s_delay_alu instid0(VALU_DEP_4)
	v_mul_f16_e32 v30, 0xbb9c, v19
	v_mul_f16_e64 v151, 0xb4f2, v19
	v_fmac_f16_e64 v153, 0x3a79, v27
	v_mul_f16_e32 v27, 0x38b4, v27
	v_fmac_f16_e32 v26, 0x38b4, v7
	v_fmac_f16_e32 v30, 0xb4f2, v9
	v_fmac_f16_e64 v151, 0x3b9c, v9
	v_mul_f16_e32 v9, 0xbb9c, v0
	v_mul_f16_e32 v0, 0x34f2, v0
	v_fmac_f16_e32 v27, 0x3a79, v13
	s_delay_alu instid0(VALU_DEP_4) | instskip(NEXT) | instid1(VALU_DEP_4)
	v_add_f16_e64 v19, v24, v151
	v_fmac_f16_e32 v9, 0x34f2, v18
	s_delay_alu instid0(VALU_DEP_4) | instskip(SKIP_1) | instid1(VALU_DEP_2)
	v_fmac_f16_e32 v0, 0x3b9c, v18
	v_add_f16_e32 v18, v22, v30
	v_add_f16_e64 v245, v8, v0
	s_delay_alu instid0(VALU_DEP_2)
	v_pack_b32_f16 v19, v18, v19
	v_add_f16_e32 v18, v4, v9
	v_sub_f16_e32 v0, v8, v0
	v_add_f16_e32 v8, v14, v43
	v_sub_f16_e32 v9, v4, v9
	v_fmamk_f16 v4, v11, 0x3b9c, v25
	v_pack_b32_f16 v18, v18, v245
	v_fmac_f16_e32 v25, 0xbb9c, v11
	v_fma_f16 v245, -0.5, v8, v20
	v_pack_b32_f16 v9, v9, v0
	v_fmac_f16_e32 v4, 0x38b4, v10
	s_delay_alu instid0(VALU_DEP_4) | instskip(NEXT) | instid1(VALU_DEP_4)
	v_fmac_f16_e32 v25, 0xb8b4, v10
	v_fma_f16 v13, 0xbb9c, v23, v245
	v_fmac_f16_e64 v245, 0x3b9c, v23
	s_delay_alu instid0(VALU_DEP_4)
	v_fmac_f16_e32 v4, 0x34f2, v3
	v_mul_f16_e32 v23, 0xb8b4, v1
	v_fmac_f16_e32 v25, 0x34f2, v3
	v_fmac_f16_e32 v13, 0xb8b4, v28
	v_pk_add_f16 v1, v20, v16
	v_pk_add_f16 v3, v50, v52
	v_sub_f16_e32 v8, v4, v27
	v_fmac_f16_e64 v245, 0x38b4, v28
	v_fmac_f16_e32 v13, 0x34f2, v6
	v_pk_add_f16 v1, v1, v14
	v_pk_add_f16 v3, v3, v54
	v_add_f16_e32 v2, v4, v27
	v_fmac_f16_e64 v245, 0x34f2, v6
	v_sub_f16_e64 v0, v13, v153
	v_pk_add_f16 v1, v1, v43
	v_pk_add_f16 v3, v3, v48
	v_fmac_f16_e32 v23, 0xba79, v7
	v_lshrrev_b32_e32 v14, 16, v15
	v_pack_b32_f16 v8, v0, v8
	v_add_f16_e64 v0, v13, v153
	v_pk_add_f16 v1, v1, v41
	v_pk_add_f16 v3, v3, v46
	v_sub_f16_e32 v16, v17, v15
	s_delay_alu instid0(VALU_DEP_4) | instskip(SKIP_1) | instid1(VALU_DEP_4)
	v_pack_b32_f16 v11, v0, v2
	v_add_f16_e64 v0, v245, v23
	v_pk_add_f16 v10, v1, v3
	v_pk_add_f16 v13, v1, v3 neg_lo:[0,1] neg_hi:[0,1]
	v_add_f16_e32 v1, v25, v26
	s_delay_alu instid0(VALU_DEP_1)
	v_pack_b32_f16 v12, v0, v1
	ds_load_2addr_b32 v[153:154], v107 offset0:128 offset1:224
	ds_load_2addr_b32 v[6:7], v98 offset0:64 offset1:160
	ds_load_2addr_b32 v[2:3], v95 offset1:96
	ds_load_2addr_b32 v[0:1], v176 offset0:64 offset1:160
	ds_load_2addr_b32 v[4:5], v178 offset0:128 offset1:224
	s_waitcnt lgkmcnt(0)
	s_barrier
	buffer_gl0_inv
	ds_store_2addr_b64 v142, v[10:11], v[18:19] offset1:1
	ds_store_2addr_b64 v142, v[12:13], v[8:9] offset0:2 offset1:3
	v_sub_f16_e32 v8, v22, v30
	v_sub_f16_e64 v9, v245, v23
	v_sub_f16_e32 v10, v25, v26
	v_sub_f16_e64 v11, v24, v151
	v_sub_f16_e32 v12, v44, v42
	v_sub_f16_e32 v13, v15, v44
	v_add_f16_e32 v19, v17, v42
	v_pack_b32_f16 v9, v9, v10
	v_pack_b32_f16 v8, v8, v11
	v_lshrrev_b32_e32 v10, 16, v44
	v_lshrrev_b32_e32 v18, 16, v17
	;; [unrolled: 1-line block ×3, first 2 shown]
	v_fma_f16 v19, -0.5, v19, v21
	ds_store_b64 v142, v[8:9] offset:32
	v_pk_add_f16 v8, v21, v17
	v_add_f16_e32 v9, v15, v44
	v_sub_f16_e32 v23, v18, v22
	v_lshrrev_b32_e32 v27, 16, v2
	v_lshrrev_b32_e32 v28, 16, v0
	v_pk_add_f16 v8, v8, v15
	v_sub_f16_e32 v15, v15, v17
	v_fma_f16 v24, -0.5, v9, v21
	v_lshrrev_b32_e32 v21, 16, v21
	v_sub_f16_e32 v17, v17, v42
	v_pk_add_f16 v8, v8, v44
	v_sub_f16_e32 v9, v10, v22
	v_sub_f16_e32 v11, v42, v44
	;; [unrolled: 1-line block ×3, first 2 shown]
	v_lshrrev_b32_e32 v43, 16, v4
	v_pk_add_f16 v20, v8, v42
	v_add_f16_e32 v8, v15, v12
	v_sub_f16_e32 v12, v14, v10
	v_lshrrev_b32_e32 v42, 16, v6
	v_lshrrev_b32_e32 v46, 16, v153
	v_sub_f16_e32 v50, v28, v43
	v_sub_f16_e32 v54, v6, v4
	v_fmamk_f16 v15, v12, 0x3b9c, v19
	v_fmac_f16_e32 v19, 0xbb9c, v12
	v_sub_f16_e32 v44, v42, v43
	v_add_f16_e32 v16, v16, v11
	v_sub_f16_e32 v11, v43, v28
	v_fmac_f16_e32 v15, 0xb8b4, v23
	v_fmac_f16_e32 v19, 0x38b4, v23
	s_delay_alu instid0(VALU_DEP_2) | instskip(NEXT) | instid1(VALU_DEP_2)
	v_fmac_f16_e32 v15, 0x34f2, v8
	v_fmac_f16_e32 v19, 0x34f2, v8
	v_add_f16_e32 v8, v14, v10
	v_sub_f16_e32 v10, v22, v10
	s_delay_alu instid0(VALU_DEP_2) | instskip(SKIP_2) | instid1(VALU_DEP_2)
	v_fma_f16 v25, -0.5, v8, v21
	v_add_f16_e32 v8, v18, v22
	v_sub_f16_e32 v22, v6, v2
	v_fmac_f16_e32 v21, -0.5, v8
	v_sub_f16_e32 v8, v14, v18
	v_sub_f16_e32 v14, v18, v14
	;; [unrolled: 1-line block ×3, first 2 shown]
	s_delay_alu instid0(VALU_DEP_4)
	v_fmamk_f16 v26, v13, 0xbb9c, v21
	v_fmac_f16_e32 v21, 0x3b9c, v13
	v_add_f16_e32 v8, v8, v9
	v_sub_f16_e32 v9, v2, v6
	v_add_f16_e32 v14, v14, v10
	v_fmac_f16_e32 v26, 0x38b4, v17
	v_fmac_f16_e32 v21, 0xb8b4, v17
	v_sub_f16_e32 v10, v42, v27
	v_add_f16_e32 v18, v22, v18
	s_delay_alu instid0(VALU_DEP_4) | instskip(NEXT) | instid1(VALU_DEP_4)
	v_fmac_f16_e32 v26, 0x34f2, v8
	v_fmac_f16_e32 v21, 0x34f2, v8
	v_sub_f16_e32 v8, v0, v4
	v_add_f16_e32 v22, v10, v11
	v_add_f16_e32 v10, v2, v0
	s_delay_alu instid0(VALU_DEP_3) | instskip(SKIP_2) | instid1(VALU_DEP_2)
	v_add_f16_e32 v8, v9, v8
	v_add_f16_e32 v9, v6, v4
	v_pk_add_f16 v6, v153, v6
	v_fma_f16 v9, -0.5, v9, v153
	s_delay_alu instid0(VALU_DEP_1) | instskip(SKIP_1) | instid1(VALU_DEP_2)
	v_fmamk_f16 v41, v30, 0x3b9c, v9
	v_fmac_f16_e32 v9, 0xbb9c, v30
	v_fmac_f16_e32 v41, 0xb8b4, v44
	s_delay_alu instid0(VALU_DEP_2) | instskip(NEXT) | instid1(VALU_DEP_2)
	v_fmac_f16_e32 v9, 0x38b4, v44
	v_fmac_f16_e32 v41, 0x34f2, v8
	s_delay_alu instid0(VALU_DEP_2) | instskip(SKIP_1) | instid1(VALU_DEP_1)
	v_fmac_f16_e32 v9, 0x34f2, v8
	v_add_f16_e32 v8, v27, v28
	v_fma_f16 v48, -0.5, v8, v46
	v_add_f16_e32 v8, v42, v43
	s_delay_alu instid0(VALU_DEP_1) | instskip(SKIP_4) | instid1(VALU_DEP_4)
	v_fmac_f16_e32 v46, -0.5, v8
	v_sub_f16_e32 v8, v27, v42
	v_fma_f16 v27, -0.5, v10, v153
	v_fmamk_f16 v10, v54, 0x3b9c, v48
	v_fmac_f16_e32 v48, 0xbb9c, v54
	v_add_f16_e32 v8, v8, v50
	v_sub_f16_e32 v50, v2, v0
	v_fmamk_f16 v11, v44, 0xbb9c, v27
	v_fmac_f16_e32 v27, 0x3b9c, v44
	v_pk_add_f16 v2, v6, v2
	s_delay_alu instid0(VALU_DEP_4)
	v_fmamk_f16 v52, v50, 0xbb9c, v46
	v_fmac_f16_e32 v46, 0x3b9c, v50
	v_fmac_f16_e32 v10, 0x38b4, v50
	;; [unrolled: 1-line block ×11, first 2 shown]
	v_mul_f16_e32 v28, 0xb8b4, v10
	v_fmac_f16_e32 v48, 0x34f2, v22
	v_fmac_f16_e32 v27, 0x34f2, v18
	v_mul_f16_e64 v151, 0xbb9c, v52
	v_mul_f16_e64 v142, 0xbb9c, v46
	v_mul_f16_e32 v46, 0xb4f2, v46
	v_mul_f16_e32 v52, 0x34f2, v52
	v_fmac_f16_e32 v28, 0x3a79, v11
	v_fmac_f16_e64 v151, 0x34f2, v41
	v_fmac_f16_e64 v142, 0xb4f2, v9
	v_fmac_f16_e32 v46, 0x3b9c, v9
	v_fmac_f16_e32 v52, 0x3b9c, v41
	v_pk_add_f16 v0, v2, v0
	v_add_f16_e32 v22, v3, v1
	v_add_f16_e64 v8, v19, v142
	v_add_f16_e32 v9, v21, v46
	v_add_f16_e32 v41, v26, v52
	v_pk_add_f16 v0, v0, v4
	v_sub_f16_e32 v6, v21, v46
	v_add_f16_e32 v30, v7, v5
	v_pack_b32_f16 v9, v8, v9
	v_add_f16_e64 v8, v15, v151
	v_fma_f16 v22, -0.5, v22, v154
	s_delay_alu instid0(VALU_DEP_2)
	v_pack_b32_f16 v8, v8, v41
	v_mul_f16_e32 v41, 0x38b4, v11
	v_sub_f16_e32 v11, v26, v52
	v_fmamk_f16 v26, v17, 0x3b9c, v25
	v_fmac_f16_e32 v25, 0xbb9c, v17
	v_mul_f16_e32 v17, 0xba79, v48
	v_fmac_f16_e32 v41, 0x3a79, v10
	v_sub_f16_e64 v10, v15, v151
	v_fmamk_f16 v15, v23, 0xbb9c, v24
	v_fmac_f16_e32 v24, 0x3b9c, v23
	v_fmac_f16_e32 v26, 0x38b4, v13
	;; [unrolled: 1-line block ×3, first 2 shown]
	v_pack_b32_f16 v11, v10, v11
	v_fmac_f16_e32 v15, 0xb8b4, v12
	v_fmac_f16_e32 v24, 0x38b4, v12
	;; [unrolled: 1-line block ×7, first 2 shown]
	v_mul_f16_e32 v16, 0xb8b4, v48
	v_add_f16_e32 v12, v26, v41
	v_add_f16_e32 v2, v25, v17
	v_sub_f16_e32 v10, v15, v28
	v_add_f16_e32 v15, v15, v28
	v_fmac_f16_e32 v16, 0xba79, v27
	v_sub_f16_e32 v42, v26, v41
	v_sub_f16_e32 v4, v25, v17
	v_lshrrev_b32_e32 v17, 16, v45
	v_pack_b32_f16 v13, v15, v12
	v_pk_add_f16 v12, v20, v0
	v_pk_add_f16 v15, v20, v0 neg_lo:[0,1] neg_hi:[0,1]
	v_add_f16_e32 v0, v24, v16
	v_pack_b32_f16 v10, v10, v42
	v_lshrrev_b32_e32 v20, 16, v49
	v_lshrrev_b32_e32 v23, 16, v1
	v_sub_f16_e32 v25, v1, v5
	v_pack_b32_f16 v14, v0, v2
	v_sub_f16_e64 v0, v19, v142
	ds_store_2addr_b64 v149, v[12:13], v[8:9] offset1:1
	ds_store_2addr_b64 v149, v[14:15], v[10:11] offset0:2 offset1:3
	v_sub_f16_e32 v2, v24, v16
	v_pack_b32_f16 v8, v0, v6
	v_pk_add_f16 v0, v49, v51
	v_lshrrev_b32_e32 v10, 16, v53
	v_sub_f16_e32 v12, v53, v51
	v_pack_b32_f16 v9, v2, v4
	v_lshrrev_b32_e32 v4, 16, v47
	v_pk_add_f16 v0, v0, v53
	v_add_f16_e32 v14, v51, v45
	v_lshrrev_b32_e32 v13, 16, v51
	ds_store_b64 v149, v[8:9] offset:32
	v_sub_f16_e32 v8, v47, v45
	v_pk_add_f16 v0, v0, v47
	v_add_f16_e32 v2, v53, v47
	v_sub_f16_e32 v18, v13, v17
	v_sub_f16_e32 v9, v53, v47
	v_sub_f16_e32 v15, v51, v45
	v_pk_add_f16 v16, v0, v45
	v_add_f16_e32 v0, v12, v8
	v_fma_f16 v8, -0.5, v14, v49
	v_sub_f16_e32 v12, v10, v4
	v_fma_f16 v19, -0.5, v2, v49
	v_sub_f16_e32 v2, v4, v17
	v_sub_f16_e32 v24, v5, v1
	;; [unrolled: 1-line block ×3, first 2 shown]
	v_fmamk_f16 v14, v12, 0x3b9c, v8
	v_fmac_f16_e32 v8, 0xbb9c, v12
	v_lshrrev_b32_e32 v27, 16, v3
	v_sub_f16_e32 v28, v7, v3
	v_sub_f16_e32 v6, v45, v47
	v_fmac_f16_e32 v14, 0xb8b4, v18
	v_fmac_f16_e32 v8, 0x38b4, v18
	v_add_f16_e32 v43, v27, v23
	v_sub_f16_e32 v11, v51, v53
	s_delay_alu instid0(VALU_DEP_4) | instskip(NEXT) | instid1(VALU_DEP_4)
	v_fmac_f16_e32 v14, 0x34f2, v0
	v_fmac_f16_e32 v8, 0x34f2, v0
	v_add_f16_e32 v0, v10, v4
	v_sub_f16_e32 v4, v17, v4
	v_add_f16_e32 v6, v11, v6
	s_delay_alu instid0(VALU_DEP_3) | instskip(SKIP_1) | instid1(VALU_DEP_2)
	v_fma_f16 v21, -0.5, v0, v20
	v_add_f16_e32 v0, v13, v17
	v_fmamk_f16 v17, v15, 0x3b9c, v21
	s_delay_alu instid0(VALU_DEP_2) | instskip(SKIP_4) | instid1(VALU_DEP_4)
	v_fmac_f16_e32 v20, -0.5, v0
	v_sub_f16_e32 v0, v10, v13
	v_sub_f16_e32 v10, v13, v10
	v_fmac_f16_e32 v21, 0xbb9c, v15
	v_fmac_f16_e32 v17, 0x38b4, v9
	v_add_f16_e32 v0, v0, v2
	v_fmamk_f16 v2, v9, 0xbb9c, v20
	v_fmac_f16_e32 v20, 0x3b9c, v9
	v_add_f16_e32 v4, v10, v4
	v_add_f16_e32 v10, v28, v24
	v_fmac_f16_e32 v21, 0xb8b4, v9
	v_fmac_f16_e32 v2, 0x38b4, v15
	;; [unrolled: 1-line block ×4, first 2 shown]
	s_delay_alu instid0(VALU_DEP_4) | instskip(NEXT) | instid1(VALU_DEP_4)
	v_fmac_f16_e32 v21, 0x34f2, v4
	v_fmac_f16_e32 v2, 0x34f2, v0
	s_delay_alu instid0(VALU_DEP_4) | instskip(SKIP_1) | instid1(VALU_DEP_1)
	v_fmac_f16_e32 v20, 0x34f2, v0
	v_pk_add_f16 v0, v154, v7
	v_pk_add_f16 v0, v0, v3
	s_delay_alu instid0(VALU_DEP_1) | instskip(SKIP_3) | instid1(VALU_DEP_4)
	v_pk_add_f16 v0, v0, v1
	v_sub_f16_e32 v1, v3, v7
	v_lshrrev_b32_e32 v3, 16, v7
	v_sub_f16_e32 v7, v7, v5
	v_pk_add_f16 v41, v0, v5
	v_lshrrev_b32_e32 v5, 16, v5
	v_add_f16_e32 v0, v1, v25
	v_fma_f16 v1, -0.5, v30, v154
	v_sub_f16_e32 v25, v27, v23
	v_pk_add_f16 v4, v16, v41
	v_sub_f16_e32 v42, v3, v5
	v_add_f16_e32 v44, v3, v5
	v_sub_f16_e32 v45, v23, v5
	v_fmamk_f16 v30, v25, 0x3b9c, v1
	v_fmac_f16_e32 v1, 0xbb9c, v25
	v_sub_f16_e32 v5, v5, v23
	v_fmamk_f16 v11, v42, 0xbb9c, v22
	v_fmac_f16_e32 v22, 0x3b9c, v42
	v_fmac_f16_e32 v30, 0xb8b4, v42
	;; [unrolled: 1-line block ×3, first 2 shown]
	s_delay_alu instid0(VALU_DEP_4) | instskip(NEXT) | instid1(VALU_DEP_4)
	v_fmac_f16_e32 v11, 0xb8b4, v25
	v_fmac_f16_e32 v22, 0x38b4, v25
	s_delay_alu instid0(VALU_DEP_4) | instskip(NEXT) | instid1(VALU_DEP_4)
	v_fmac_f16_e32 v30, 0x34f2, v0
	v_fmac_f16_e32 v1, 0x34f2, v0
	v_lshrrev_b32_e32 v0, 16, v154
	v_fmac_f16_e32 v11, 0x34f2, v10
	v_fmac_f16_e32 v22, 0x34f2, v10
	s_delay_alu instid0(VALU_DEP_3) | instskip(SKIP_3) | instid1(VALU_DEP_2)
	v_fma_f16 v43, -0.5, v43, v0
	v_fmac_f16_e32 v0, -0.5, v44
	v_sub_f16_e32 v44, v27, v3
	v_sub_f16_e32 v3, v3, v27
	v_add_f16_e32 v44, v44, v45
	s_delay_alu instid0(VALU_DEP_4) | instskip(SKIP_1) | instid1(VALU_DEP_4)
	v_fmamk_f16 v45, v26, 0xbb9c, v0
	v_fmac_f16_e32 v0, 0x3b9c, v26
	v_add_f16_e32 v5, v3, v5
	v_fmamk_f16 v3, v7, 0x3b9c, v43
	v_fmac_f16_e32 v43, 0xbb9c, v7
	v_fmac_f16_e32 v45, 0x38b4, v7
	;; [unrolled: 1-line block ×3, first 2 shown]
	s_delay_alu instid0(VALU_DEP_4) | instskip(NEXT) | instid1(VALU_DEP_4)
	v_fmac_f16_e32 v3, 0x38b4, v26
	v_fmac_f16_e32 v43, 0xb8b4, v26
	s_delay_alu instid0(VALU_DEP_4) | instskip(NEXT) | instid1(VALU_DEP_4)
	v_fmac_f16_e32 v45, 0x34f2, v44
	v_fmac_f16_e32 v0, 0x34f2, v44
	;; [unrolled: 3-line block ×3, first 2 shown]
	s_delay_alu instid0(VALU_DEP_4) | instskip(NEXT) | instid1(VALU_DEP_4)
	v_mul_f16_e32 v47, 0xbb9c, v45
	v_mul_f16_e32 v44, 0xbb9c, v0
	;; [unrolled: 1-line block ×5, first 2 shown]
	v_fmac_f16_e32 v47, 0x34f2, v30
	v_fmac_f16_e32 v44, 0xb4f2, v1
	;; [unrolled: 1-line block ×4, first 2 shown]
	v_mul_f16_e32 v11, 0x38b4, v11
	v_fmac_f16_e32 v45, 0x3b9c, v30
	v_add_f16_e32 v0, v8, v44
	v_add_f16_e32 v1, v20, v46
	v_mul_f16_e32 v9, 0xb8b4, v43
	v_fmac_f16_e32 v11, 0x3a79, v3
	v_sub_f16_e32 v3, v14, v47
	v_mul_f16_e32 v10, 0xba79, v43
	v_pack_b32_f16 v1, v0, v1
	v_add_f16_e32 v0, v14, v47
	v_fmamk_f16 v14, v18, 0xbb9c, v19
	v_fmac_f16_e32 v19, 0x3b9c, v18
	v_add_f16_e32 v30, v2, v45
	v_sub_f16_e32 v2, v2, v45
	v_fmac_f16_e32 v9, 0xba79, v22
	v_fmac_f16_e32 v14, 0xb8b4, v12
	v_fmac_f16_e32 v19, 0x38b4, v12
	v_fmac_f16_e32 v10, 0x38b4, v22
	v_add_f16_e32 v5, v17, v11
	v_pack_b32_f16 v3, v3, v2
	v_fmac_f16_e32 v14, 0x34f2, v6
	v_fmac_f16_e32 v19, 0x34f2, v6
	v_sub_f16_e32 v23, v17, v11
	v_add_f16_e32 v11, v21, v10
	v_pack_b32_f16 v0, v0, v30
	v_add_f16_e32 v7, v14, v13
	v_sub_f16_e32 v2, v14, v13
	v_add_f16_e32 v6, v19, v9
	v_lshrrev_b32_e32 v12, 16, v232
	s_delay_alu instid0(VALU_DEP_4) | instskip(NEXT) | instid1(VALU_DEP_4)
	v_pack_b32_f16 v5, v7, v5
	v_pack_b32_f16 v2, v2, v23
	v_pk_add_f16 v7, v16, v41 neg_lo:[0,1] neg_hi:[0,1]
	v_pack_b32_f16 v6, v6, v11
	ds_store_2addr_b64 v147, v[4:5], v[0:1] offset1:1
	ds_store_2addr_b64 v147, v[6:7], v[2:3] offset0:2 offset1:3
	v_sub_f16_e32 v0, v8, v44
	v_sub_f16_e32 v1, v19, v9
	v_sub_f16_e32 v2, v21, v10
	v_sub_f16_e32 v3, v20, v46
	v_lshrrev_b32_e32 v4, 16, v129
	v_lshrrev_b32_e32 v6, 16, v130
	;; [unrolled: 1-line block ×3, first 2 shown]
	v_pack_b32_f16 v1, v1, v2
	v_pack_b32_f16 v0, v0, v3
	v_lshrrev_b32_e32 v2, 16, v128
	v_lshrrev_b32_e32 v9, 16, v84
	ds_store_b64 v147, v[0:1] offset:32
	s_waitcnt lgkmcnt(0)
	s_barrier
	buffer_gl0_inv
	ds_load_2addr_b32 v[41:42], v107 offset0:128 offset1:224
	s_waitcnt lgkmcnt(0)
	v_lshrrev_b32_e32 v0, 16, v42
	v_mul_f16_e32 v1, v2, v42
	s_delay_alu instid0(VALU_DEP_2) | instskip(NEXT) | instid1(VALU_DEP_2)
	v_mul_f16_e32 v49, v2, v0
	v_fma_f16 v51, v128, v0, -v1
	ds_load_2addr_b32 v[0:1], v98 offset0:64 offset1:160
	v_fmac_f16_e64 v49, v128, v42
	s_waitcnt lgkmcnt(0)
	v_lshrrev_b32_e32 v2, 16, v0
	v_mul_f16_e32 v3, v4, v0
	s_delay_alu instid0(VALU_DEP_2) | instskip(NEXT) | instid1(VALU_DEP_2)
	v_mul_f16_e32 v14, v4, v2
	v_fma_f16 v15, v129, v2, -v3
	ds_load_2addr_b32 v[2:3], v123 offset0:64 offset1:160
	v_fmac_f16_e64 v14, v129, v0
	v_lshrrev_b32_e32 v0, 16, v85
	s_waitcnt lgkmcnt(0)
	v_lshrrev_b32_e32 v4, 16, v3
	v_mul_f16_e32 v5, v6, v3
	s_delay_alu instid0(VALU_DEP_2) | instskip(NEXT) | instid1(VALU_DEP_2)
	v_mul_f16_e32 v16, v6, v4
	v_fma_f16 v17, v130, v4, -v5
	ds_load_2addr_b32 v[4:5], v119 offset0:128 offset1:224
	v_fmac_f16_e64 v16, v130, v3
	v_lshrrev_b32_e32 v3, 16, v1
	s_delay_alu instid0(VALU_DEP_1) | instskip(NEXT) | instid1(VALU_DEP_1)
	v_mul_f16_e32 v45, v0, v3
	v_fmac_f16_e32 v45, v85, v1
	s_waitcnt lgkmcnt(0)
	v_lshrrev_b32_e32 v6, 16, v4
	v_mul_f16_e32 v7, v8, v4
	s_delay_alu instid0(VALU_DEP_2) | instskip(NEXT) | instid1(VALU_DEP_2)
	v_mul_f16_e32 v18, v8, v6
	v_fma_f16 v19, v131, v6, -v7
	v_lshrrev_b32_e32 v6, 16, v5
	s_delay_alu instid0(VALU_DEP_3)
	v_fmac_f16_e64 v18, v131, v4
	v_mul_f16_e32 v4, v0, v1
	v_lshrrev_b32_e32 v0, 16, v87
	v_add_f16_e32 v26, v15, v19
	v_sub_f16_e32 v27, v15, v19
	v_sub_f16_e32 v28, v14, v18
	v_fma_f16 v54, v85, v3, -v4
	v_mul_f16_e32 v52, v0, v6
	ds_load_2addr_b32 v[3:4], v95 offset1:96
	v_fmac_f16_e32 v52, v87, v5
	v_mul_f16_e32 v5, v0, v5
	ds_load_2addr_b32 v[0:1], v136 offset0:64 offset1:160
	v_fma_f16 v22, v87, v6, -v5
	s_waitcnt lgkmcnt(0)
	v_lshrrev_b32_e32 v7, 16, v0
	v_mul_f16_e32 v8, v9, v0
	s_delay_alu instid0(VALU_DEP_2) | instskip(NEXT) | instid1(VALU_DEP_2)
	v_mul_f16_e32 v46, v9, v7
	v_fma_f16 v48, v84, v7, -v8
	v_lshrrev_b32_e32 v7, 16, v3
	v_lshrrev_b32_e32 v9, 16, v86
	s_delay_alu instid0(VALU_DEP_4) | instskip(SKIP_1) | instid1(VALU_DEP_3)
	v_fmac_f16_e32 v46, v84, v0
	v_lshrrev_b32_e32 v0, 16, v1
	v_mul_f16_e32 v20, v9, v7
	v_mul_f16_e32 v8, v9, v3
	s_delay_alu instid0(VALU_DEP_3) | instskip(NEXT) | instid1(VALU_DEP_3)
	v_mul_f16_e32 v42, v82, v0
	v_fmac_f16_e32 v20, v86, v3
	v_lshrrev_b32_e32 v3, 16, v4
	s_delay_alu instid0(VALU_DEP_4) | instskip(NEXT) | instid1(VALU_DEP_4)
	v_fma_f16 v21, v86, v7, -v8
	v_fmac_f16_e32 v42, v36, v1
	v_mul_f16_e32 v1, v82, v1
	s_delay_alu instid0(VALU_DEP_4) | instskip(NEXT) | instid1(VALU_DEP_2)
	v_mul_f16_e32 v44, v74, v3
	v_fma_f16 v43, v36, v0, -v1
	ds_load_2addr_b32 v[0:1], v134 offset0:128 offset1:224
	v_fmac_f16_e32 v44, v38, v4
	v_mul_f16_e32 v4, v74, v4
	s_delay_alu instid0(VALU_DEP_1) | instskip(SKIP_4) | instid1(VALU_DEP_2)
	v_fma_f16 v47, v38, v3, -v4
	ds_load_2addr_b32 v[3:4], v176 offset0:64 offset1:160
	s_waitcnt lgkmcnt(1)
	v_lshrrev_b32_e32 v5, 16, v0
	v_mul_f16_e32 v6, v55, v0
	v_mul_f16_e32 v50, v55, v5
	s_delay_alu instid0(VALU_DEP_2) | instskip(SKIP_4) | instid1(VALU_DEP_3)
	v_fma_f16 v53, v37, v5, -v6
	s_waitcnt lgkmcnt(0)
	v_lshrrev_b32_e32 v5, 16, v3
	v_mul_f16_e32 v6, v40, v3
	v_fmac_f16_e32 v50, v37, v0
	v_mul_f16_e32 v40, v40, v5
	s_delay_alu instid0(VALU_DEP_3) | instskip(SKIP_2) | instid1(VALU_DEP_4)
	v_fma_f16 v55, v39, v5, -v6
	v_mul_f16_e32 v5, v76, v1
	v_lshrrev_b32_e32 v6, 16, v4
	v_fmac_f16_e32 v40, v39, v3
	v_lshrrev_b32_e32 v3, 16, v1
	s_delay_alu instid0(VALU_DEP_3) | instskip(NEXT) | instid1(VALU_DEP_2)
	v_mul_f16_e32 v36, v93, v6
	v_mul_f16_e32 v7, v76, v3
	s_delay_alu instid0(VALU_DEP_2) | instskip(SKIP_1) | instid1(VALU_DEP_3)
	v_fmac_f16_e32 v36, v35, v4
	v_mul_f16_e32 v4, v93, v4
	v_fmac_f16_e32 v7, v33, v1
	ds_load_2addr_b32 v[0:1], v135 offset1:96
	v_fma_f16 v33, v33, v3, -v5
	v_fma_f16 v35, v35, v6, -v4
	v_lshrrev_b32_e32 v6, 16, v231
	s_waitcnt lgkmcnt(0)
	v_lshrrev_b32_e32 v9, 16, v0
	v_mul_f16_e64 v10, v132, v0
	s_delay_alu instid0(VALU_DEP_2) | instskip(NEXT) | instid1(VALU_DEP_2)
	v_mul_f16_e64 v8, v132, v9
	v_fma_f16 v11, v32, v9, -v10
	ds_load_2addr_b32 v[9:10], v124 offset0:64 offset1:160
	v_fmac_f16_e32 v8, v32, v0
	v_lshrrev_b32_e32 v0, 16, v1
	s_waitcnt lgkmcnt(0)
	v_lshrrev_b32_e32 v3, 16, v9
	v_mul_f16_e32 v5, v83, v9
	s_delay_alu instid0(VALU_DEP_2) | instskip(NEXT) | instid1(VALU_DEP_2)
	v_mul_f16_e32 v38, v83, v3
	v_fma_f16 v37, v34, v3, -v5
	v_lshrrev_b32_e32 v3, 16, v230
	s_delay_alu instid0(VALU_DEP_3) | instskip(SKIP_1) | instid1(VALU_DEP_3)
	v_fmac_f16_e32 v38, v34, v9
	v_lshrrev_b32_e32 v9, 16, v10
	v_mul_f16_e32 v4, v3, v0
	s_delay_alu instid0(VALU_DEP_1) | instskip(SKIP_2) | instid1(VALU_DEP_2)
	v_fmac_f16_e64 v4, v230, v1
	v_mul_f16_e32 v1, v3, v1
	v_lshrrev_b32_e32 v3, 16, v2
	v_fma_f16 v0, v230, v0, -v1
	s_delay_alu instid0(VALU_DEP_2) | instskip(NEXT) | instid1(VALU_DEP_1)
	v_mul_f16_e32 v5, v6, v3
	v_fmac_f16_e64 v5, v231, v2
	v_mul_f16_e32 v2, v6, v2
	v_mul_f16_e32 v6, v12, v9
	;; [unrolled: 1-line block ×3, first 2 shown]
	s_delay_alu instid0(VALU_DEP_3) | instskip(NEXT) | instid1(VALU_DEP_3)
	v_fma_f16 v1, v231, v3, -v2
	v_fmac_f16_e64 v6, v232, v10
	s_delay_alu instid0(VALU_DEP_3) | instskip(SKIP_4) | instid1(VALU_DEP_2)
	v_fma_f16 v10, v232, v9, -v12
	ds_load_2addr_b32 v[12:13], v118 offset1:96
	v_lshrrev_b32_e32 v2, 16, v233
	s_waitcnt lgkmcnt(0)
	v_lshrrev_b32_e32 v3, 16, v12
	v_mul_f16_e32 v9, v2, v12
	s_delay_alu instid0(VALU_DEP_2) | instskip(NEXT) | instid1(VALU_DEP_2)
	v_mul_f16_e32 v2, v2, v3
	v_fma_f16 v9, v233, v3, -v9
	v_lshrrev_b32_e32 v3, 16, v13
	s_delay_alu instid0(VALU_DEP_3) | instskip(SKIP_1) | instid1(VALU_DEP_1)
	v_fmac_f16_e64 v2, v233, v12
	v_lshrrev_b32_e32 v12, 16, v152
	v_mul_f16_e32 v23, v12, v3
	v_mul_f16_e32 v12, v12, v13
	s_delay_alu instid0(VALU_DEP_2) | instskip(NEXT) | instid1(VALU_DEP_2)
	v_fmac_f16_e64 v23, v152, v13
	v_fma_f16 v3, v152, v3, -v12
	ds_load_2addr_b32 v[12:13], v125 offset1:96
	v_sub_f16_e32 v30, v16, v23
	v_sub_f16_e32 v32, v17, v3
	s_waitcnt lgkmcnt(0)
	v_lshrrev_b32_e32 v24, 16, v12
	s_delay_alu instid0(VALU_DEP_1) | instskip(SKIP_2) | instid1(VALU_DEP_3)
	v_add_f16_e32 v25, v24, v15
	v_add_f16_e32 v15, v12, v14
	v_fmac_f16_e32 v24, -0.5, v26
	v_add_f16_e32 v25, v25, v19
	s_delay_alu instid0(VALU_DEP_3)
	v_add_f16_e32 v26, v15, v18
	v_add_f16_e32 v15, v14, v18
	;; [unrolled: 1-line block ×5, first 2 shown]
	v_fmamk_f16 v82, v28, 0x3aee, v24
	v_fma_f16 v12, -0.5, v15, v12
	v_fmac_f16_e32 v51, -0.5, v14
	v_add_f16_e32 v14, v49, v16
	v_fmac_f16_e32 v49, -0.5, v19
	v_add_f16_e32 v3, v18, v3
	v_fmamk_f16 v76, v27, 0xbaee, v12
	v_fmac_f16_e32 v12, 0x3aee, v27
	v_add_f16_e32 v23, v14, v23
	v_fmamk_f16 v14, v30, 0x3aee, v51
	v_fmac_f16_e32 v51, 0xbaee, v30
	v_fmac_f16_e32 v24, 0xbaee, v28
	v_add_f16_e32 v16, v25, v3
	v_sub_f16_e32 v3, v25, v3
	v_mul_f16_e32 v34, 0xbaee, v14
	v_mul_f16_e32 v39, 0.5, v14
	v_fmamk_f16 v14, v32, 0xbaee, v49
	v_fmac_f16_e32 v49, 0x3aee, v32
	v_mul_f16_e32 v27, 0xbaee, v51
	v_mul_f16_e32 v28, -0.5, v51
	v_add_f16_e32 v30, v54, v22
	v_fmac_f16_e32 v34, 0.5, v14
	v_fmac_f16_e32 v39, 0x3aee, v14
	v_add_f16_e32 v14, v26, v23
	v_fmac_f16_e32 v27, -0.5, v49
	v_fmac_f16_e32 v28, 0x3aee, v49
	v_sub_f16_e32 v23, v26, v23
	v_add_f16_e32 v15, v82, v39
	v_pack_b32_f16 v74, v14, v16
	v_add_f16_e32 v14, v76, v34
	v_add_f16_e32 v25, v12, v27
	;; [unrolled: 1-line block ×3, first 2 shown]
	v_pack_b32_f16 v3, v23, v3
	v_sub_f16_e32 v12, v12, v27
	v_pack_b32_f16 v83, v14, v15
	ds_load_2addr_b32 v[14:15], v110 offset0:64 offset1:160
	ds_load_2addr_b32 v[16:17], v137 offset0:64 offset1:160
	;; [unrolled: 1-line block ×3, first 2 shown]
	v_pack_b32_f16 v25, v25, v26
	s_waitcnt lgkmcnt(0)
	s_barrier
	buffer_gl0_inv
	v_sub_f16_e32 v23, v82, v39
	ds_store_2addr_b32 v148, v25, v3 offset0:20 offset1:30
	v_sub_f16_e32 v3, v76, v34
	v_sub_f16_e32 v24, v24, v28
	v_add_f16_e32 v26, v46, v20
	v_add_f16_e32 v27, v48, v21
	ds_store_2addr_b32 v148, v74, v83 offset1:10
	v_pack_b32_f16 v3, v3, v23
	v_pack_b32_f16 v12, v12, v24
	v_lshrrev_b32_e32 v23, 16, v144
	v_add_f16_e32 v24, v13, v45
	ds_store_2addr_b32 v148, v3, v12 offset0:40 offset1:50
	v_lshrrev_b32_e32 v3, 16, v14
	v_mul_f16_e32 v12, v23, v14
	s_delay_alu instid0(VALU_DEP_2) | instskip(NEXT) | instid1(VALU_DEP_2)
	v_mul_f16_e32 v23, v23, v3
	v_fma_f16 v3, v144, v3, -v12
	v_add_f16_e32 v12, v45, v52
	s_delay_alu instid0(VALU_DEP_3) | instskip(SKIP_1) | instid1(VALU_DEP_3)
	v_fmac_f16_e64 v23, v144, v14
	v_lshrrev_b32_e32 v14, 16, v13
	v_fmac_f16_e32 v13, -0.5, v12
	v_sub_f16_e32 v12, v54, v22
	s_delay_alu instid0(VALU_DEP_1) | instskip(SKIP_2) | instid1(VALU_DEP_1)
	v_fmamk_f16 v25, v12, 0xbaee, v13
	v_fmac_f16_e32 v13, 0x3aee, v12
	v_add_f16_e32 v12, v20, v23
	v_fmac_f16_e32 v46, -0.5, v12
	v_add_f16_e32 v12, v21, v3
	s_delay_alu instid0(VALU_DEP_1) | instskip(SKIP_2) | instid1(VALU_DEP_2)
	v_fmac_f16_e32 v48, -0.5, v12
	v_sub_f16_e32 v12, v20, v23
	v_add_f16_e32 v23, v26, v23
	v_fmamk_f16 v20, v12, 0x3aee, v48
	v_fmac_f16_e32 v48, 0xbaee, v12
	v_sub_f16_e32 v12, v21, v3
	v_add_f16_e32 v3, v27, v3
	s_delay_alu instid0(VALU_DEP_4) | instskip(SKIP_1) | instid1(VALU_DEP_4)
	v_mul_f16_e32 v26, 0xbaee, v20
	v_mul_f16_e32 v20, 0.5, v20
	v_fmamk_f16 v21, v12, 0xbaee, v46
	v_fmac_f16_e32 v46, 0x3aee, v12
	v_mul_f16_e32 v12, 0xbaee, v48
	s_delay_alu instid0(VALU_DEP_3) | instskip(SKIP_1) | instid1(VALU_DEP_3)
	v_fmac_f16_e32 v26, 0.5, v21
	v_fmac_f16_e32 v20, 0x3aee, v21
	v_fmac_f16_e32 v12, -0.5, v46
	s_delay_alu instid0(VALU_DEP_1) | instskip(SKIP_4) | instid1(VALU_DEP_3)
	v_add_f16_e32 v28, v13, v12
	v_sub_f16_e32 v12, v13, v12
	v_add_f16_e32 v13, v14, v54
	v_fmac_f16_e32 v14, -0.5, v30
	v_add_f16_e32 v30, v25, v26
	v_add_f16_e32 v13, v13, v22
	;; [unrolled: 1-line block ×3, first 2 shown]
	v_sub_f16_e32 v24, v45, v52
	s_delay_alu instid0(VALU_DEP_3) | instskip(NEXT) | instid1(VALU_DEP_3)
	v_add_f16_e32 v27, v13, v3
	v_add_f16_e32 v21, v22, v23
	v_sub_f16_e32 v22, v22, v23
	v_sub_f16_e32 v3, v13, v3
	s_delay_alu instid0(VALU_DEP_3) | instskip(SKIP_2) | instid1(VALU_DEP_4)
	v_pack_b32_f16 v21, v21, v27
	v_fmamk_f16 v27, v24, 0x3aee, v14
	v_fmac_f16_e32 v14, 0xbaee, v24
	v_pack_b32_f16 v3, v22, v3
	v_add_f16_e32 v24, v43, v47
	v_sub_f16_e32 v22, v50, v40
	v_add_f16_e32 v32, v27, v20
	s_delay_alu instid0(VALU_DEP_1) | instskip(SKIP_2) | instid1(VALU_DEP_1)
	v_pack_b32_f16 v30, v30, v32
	ds_store_2addr_b32 v206, v21, v30 offset1:10
	v_mul_f16_e32 v21, -0.5, v48
	v_fmac_f16_e32 v21, 0x3aee, v46
	v_lshrrev_b32_e32 v46, 16, v195
	s_delay_alu instid0(VALU_DEP_2) | instskip(SKIP_2) | instid1(VALU_DEP_3)
	v_add_f16_e32 v13, v14, v21
	v_sub_f16_e32 v14, v14, v21
	v_add_f16_e32 v21, v50, v40
	v_pack_b32_f16 v13, v28, v13
	s_delay_alu instid0(VALU_DEP_3) | instskip(SKIP_4) | instid1(VALU_DEP_2)
	v_pack_b32_f16 v12, v12, v14
	ds_store_2addr_b32 v206, v13, v3 offset0:20 offset1:30
	v_sub_f16_e32 v3, v25, v26
	v_sub_f16_e32 v13, v27, v20
	;; [unrolled: 1-line block ×3, first 2 shown]
	v_pack_b32_f16 v3, v3, v13
	v_mul_f16_e64 v13, v219, v15
	ds_store_2addr_b32 v206, v3, v12 offset0:40 offset1:50
	v_lshrrev_b32_e32 v3, 16, v15
	s_delay_alu instid0(VALU_DEP_1) | instskip(SKIP_2) | instid1(VALU_DEP_3)
	v_mul_f16_e64 v12, v219, v3
	v_fma_f16 v3, v202, v3, -v13
	v_lshrrev_b32_e32 v13, 16, v16
	v_fmac_f16_e64 v12, v202, v15
	s_delay_alu instid0(VALU_DEP_3) | instskip(SKIP_1) | instid1(VALU_DEP_4)
	v_add_f16_e32 v23, v47, v3
	v_add_f16_e32 v15, v53, v55
	;; [unrolled: 1-line block ×3, first 2 shown]
	s_delay_alu instid0(VALU_DEP_4) | instskip(NEXT) | instid1(VALU_DEP_4)
	v_add_f16_e32 v25, v44, v12
	v_fmac_f16_e32 v43, -0.5, v23
	v_add_f16_e32 v23, v42, v44
	v_sub_f16_e32 v26, v44, v12
	v_fmac_f16_e32 v13, -0.5, v15
	v_add_f16_e32 v15, v16, v50
	v_fmac_f16_e32 v42, -0.5, v25
	v_add_f16_e32 v12, v23, v12
	v_sub_f16_e32 v23, v47, v3
	v_add_f16_e32 v3, v24, v3
	v_fmamk_f16 v24, v26, 0x3aee, v43
	v_add_f16_e32 v14, v14, v55
	v_add_f16_e32 v15, v15, v40
	v_fmamk_f16 v27, v23, 0xbaee, v42
	v_fma_f16 v16, -0.5, v21, v16
	v_mul_f16_e32 v25, 0xbaee, v24
	v_mul_f16_e32 v24, 0.5, v24
	v_add_f16_e32 v28, v14, v3
	v_fmac_f16_e32 v43, 0xbaee, v26
	v_fmamk_f16 v21, v20, 0xbaee, v16
	v_fmac_f16_e32 v25, 0.5, v27
	v_fmac_f16_e32 v24, 0x3aee, v27
	v_add_f16_e32 v27, v15, v12
	v_fmac_f16_e32 v16, 0x3aee, v20
	v_fmac_f16_e32 v42, 0x3aee, v23
	v_mul_f16_e32 v20, 0xbaee, v43
	v_sub_f16_e32 v12, v15, v12
	v_pack_b32_f16 v27, v27, v28
	v_fmamk_f16 v28, v22, 0x3aee, v13
	v_fmac_f16_e32 v13, 0xbaee, v22
	v_mul_f16_e32 v22, -0.5, v43
	v_fmac_f16_e32 v20, -0.5, v42
	v_sub_f16_e32 v3, v14, v3
	v_add_f16_e32 v30, v21, v25
	v_add_f16_e32 v32, v28, v24
	v_fmac_f16_e32 v22, 0x3aee, v42
	v_add_f16_e32 v14, v16, v20
	v_pack_b32_f16 v3, v12, v3
	v_sub_f16_e32 v12, v16, v20
	v_add_f16_e32 v20, v11, v37
	v_add_f16_e32 v15, v13, v22
	v_sub_f16_e32 v13, v13, v22
	v_pack_b32_f16 v30, v30, v32
	s_delay_alu instid0(VALU_DEP_3) | instskip(NEXT) | instid1(VALU_DEP_3)
	v_pack_b32_f16 v14, v14, v15
	v_pack_b32_f16 v12, v12, v13
	v_add_f16_e32 v15, v17, v7
	ds_store_2addr_b32 v64, v27, v30 offset1:10
	ds_store_2addr_b32 v64, v14, v3 offset0:20 offset1:30
	v_sub_f16_e32 v3, v21, v25
	v_sub_f16_e32 v14, v28, v24
	v_add_f16_e32 v24, v33, v35
	v_add_f16_e32 v15, v15, v36
	s_delay_alu instid0(VALU_DEP_3) | instskip(SKIP_4) | instid1(VALU_DEP_2)
	v_pack_b32_f16 v3, v3, v14
	v_lshrrev_b32_e32 v14, 16, v17
	ds_store_2addr_b32 v64, v3, v12 offset0:40 offset1:50
	v_lshrrev_b32_e32 v3, 16, v18
	v_mul_f16_e64 v12, v208, v18
	v_mul_f16_e64 v13, v208, v3
	s_delay_alu instid0(VALU_DEP_2) | instskip(SKIP_2) | instid1(VALU_DEP_4)
	v_fma_f16 v3, v193, v3, -v12
	v_add_f16_e32 v12, v7, v36
	v_sub_f16_e32 v7, v7, v36
	v_fmac_f16_e64 v13, v193, v18
	v_add_f16_e32 v18, v8, v38
	s_delay_alu instid0(VALU_DEP_4) | instskip(SKIP_1) | instid1(VALU_DEP_1)
	v_fmac_f16_e32 v17, -0.5, v12
	v_sub_f16_e32 v12, v33, v35
	v_fmamk_f16 v16, v12, 0xbaee, v17
	v_fmac_f16_e32 v17, 0x3aee, v12
	v_add_f16_e32 v12, v38, v13
	s_delay_alu instid0(VALU_DEP_1) | instskip(SKIP_1) | instid1(VALU_DEP_1)
	v_fmac_f16_e32 v8, -0.5, v12
	v_add_f16_e32 v12, v37, v3
	v_fmac_f16_e32 v11, -0.5, v12
	v_sub_f16_e32 v12, v38, v13
	v_add_f16_e32 v13, v18, v13
	s_delay_alu instid0(VALU_DEP_2) | instskip(SKIP_3) | instid1(VALU_DEP_4)
	v_fmamk_f16 v21, v12, 0x3aee, v11
	v_fmac_f16_e32 v11, 0xbaee, v12
	v_sub_f16_e32 v12, v37, v3
	v_add_f16_e32 v3, v20, v3
	v_mul_f16_e32 v18, 0xbaee, v21
	v_mul_f16_e32 v20, 0.5, v21
	s_delay_alu instid0(VALU_DEP_4) | instskip(SKIP_3) | instid1(VALU_DEP_4)
	v_fmamk_f16 v22, v12, 0xbaee, v8
	v_fmac_f16_e32 v8, 0x3aee, v12
	v_mul_f16_e32 v12, 0xbaee, v11
	v_add_f16_e32 v21, v15, v13
	v_fmac_f16_e32 v18, 0.5, v22
	v_fmac_f16_e32 v20, 0x3aee, v22
	s_delay_alu instid0(VALU_DEP_4) | instskip(NEXT) | instid1(VALU_DEP_1)
	v_fmac_f16_e32 v12, -0.5, v8
	v_add_f16_e32 v23, v17, v12
	v_sub_f16_e32 v12, v17, v12
	v_add_f16_e32 v17, v14, v33
	v_fmac_f16_e32 v14, -0.5, v24
	v_add_f16_e32 v24, v16, v18
	s_delay_alu instid0(VALU_DEP_3) | instskip(NEXT) | instid1(VALU_DEP_1)
	v_add_f16_e32 v17, v17, v35
	v_add_f16_e32 v22, v17, v3
	v_sub_f16_e32 v3, v17, v3
	s_delay_alu instid0(VALU_DEP_2) | instskip(SKIP_3) | instid1(VALU_DEP_3)
	v_pack_b32_f16 v21, v21, v22
	v_fmamk_f16 v22, v7, 0x3aee, v14
	v_fmac_f16_e32 v14, 0xbaee, v7
	v_mul_f16_e32 v7, -0.5, v11
	v_add_f16_e32 v25, v22, v20
	s_delay_alu instid0(VALU_DEP_2) | instskip(SKIP_2) | instid1(VALU_DEP_4)
	v_fmac_f16_e32 v7, 0x3aee, v8
	v_sub_f16_e32 v8, v15, v13
	v_add_f16_e32 v15, v0, v10
	v_pack_b32_f16 v24, v24, v25
	s_delay_alu instid0(VALU_DEP_4) | instskip(NEXT) | instid1(VALU_DEP_4)
	v_add_f16_e32 v11, v14, v7
	v_pack_b32_f16 v3, v8, v3
	v_sub_f16_e32 v8, v22, v20
	v_sub_f16_e32 v7, v14, v7
	v_add_f16_e32 v14, v4, v6
	v_pack_b32_f16 v11, v23, v11
	ds_store_2addr_b32 v180, v21, v24 offset1:10
	v_pack_b32_f16 v7, v12, v7
	v_add_f16_e32 v12, v41, v5
	ds_store_2addr_b32 v180, v11, v3 offset0:20 offset1:30
	v_sub_f16_e32 v3, v16, v18
	v_lshrrev_b32_e32 v11, 16, v41
	s_delay_alu instid0(VALU_DEP_2) | instskip(SKIP_1) | instid1(VALU_DEP_3)
	v_pack_b32_f16 v3, v3, v8
	v_lshrrev_b32_e32 v8, 16, v140
	v_add_f16_e32 v17, v11, v1
	ds_store_2addr_b32 v180, v3, v7 offset0:40 offset1:50
	v_lshrrev_b32_e32 v3, 16, v19
	s_delay_alu instid0(VALU_DEP_1) | instskip(SKIP_1) | instid1(VALU_DEP_2)
	v_mul_f16_e32 v7, v8, v3
	v_mul_f16_e32 v8, v8, v19
	v_fmac_f16_e64 v7, v140, v19
	s_delay_alu instid0(VALU_DEP_2) | instskip(SKIP_1) | instid1(VALU_DEP_1)
	v_fma_f16 v3, v140, v3, -v8
	v_add_f16_e32 v8, v5, v2
	v_fmac_f16_e32 v41, -0.5, v8
	v_sub_f16_e32 v8, v1, v9
	v_add_f16_e32 v1, v1, v9
	v_add_f16_e32 v9, v17, v9
	s_delay_alu instid0(VALU_DEP_3)
	v_fmamk_f16 v13, v8, 0xbaee, v41
	v_fmac_f16_e32 v41, 0x3aee, v8
	v_add_f16_e32 v8, v6, v7
	v_sub_f16_e32 v6, v6, v7
	v_fmac_f16_e32 v11, -0.5, v1
	v_add_f16_e32 v1, v12, v2
	v_sub_f16_e32 v2, v5, v2
	v_fmac_f16_e32 v4, -0.5, v8
	v_add_f16_e32 v8, v10, v3
	v_add_f16_e32 v5, v14, v7
	s_delay_alu instid0(VALU_DEP_2) | instskip(NEXT) | instid1(VALU_DEP_1)
	v_fmac_f16_e32 v0, -0.5, v8
	v_fmamk_f16 v8, v6, 0x3aee, v0
	v_fmac_f16_e32 v0, 0xbaee, v6
	v_sub_f16_e32 v6, v10, v3
	v_add_f16_e32 v3, v15, v3
	s_delay_alu instid0(VALU_DEP_4) | instskip(SKIP_1) | instid1(VALU_DEP_4)
	v_mul_f16_e32 v7, 0xbaee, v8
	v_mul_f16_e32 v8, 0.5, v8
	v_fmamk_f16 v10, v6, 0xbaee, v4
	v_fmac_f16_e32 v4, 0x3aee, v6
	v_mul_f16_e32 v6, 0xbaee, v0
	v_add_f16_e32 v12, v9, v3
	v_mul_f16_e32 v0, -0.5, v0
	v_fmac_f16_e32 v7, 0.5, v10
	v_fmac_f16_e32 v8, 0x3aee, v10
	v_add_f16_e32 v10, v1, v5
	v_fmac_f16_e32 v6, -0.5, v4
	v_fmac_f16_e32 v0, 0x3aee, v4
	v_sub_f16_e32 v1, v1, v5
	v_add_f16_e32 v14, v13, v7
	v_pack_b32_f16 v10, v10, v12
	v_fmamk_f16 v12, v2, 0x3aee, v11
	v_fmac_f16_e32 v11, 0xbaee, v2
	v_add_f16_e32 v16, v41, v6
	v_sub_f16_e32 v2, v9, v3
	v_sub_f16_e32 v6, v41, v6
	v_add_f16_e32 v15, v12, v8
	v_add_f16_e32 v3, v11, v0
	v_sub_f16_e32 v0, v11, v0
	v_pack_b32_f16 v1, v1, v2
	v_sub_f16_e32 v2, v12, v8
	v_pack_b32_f16 v14, v14, v15
	v_pack_b32_f16 v3, v16, v3
	;; [unrolled: 1-line block ×3, first 2 shown]
	ds_store_2addr_b32 v222, v10, v14 offset1:10
	ds_store_2addr_b32 v222, v3, v1 offset0:20 offset1:30
	v_sub_f16_e32 v1, v13, v7
	v_lshrrev_b32_e32 v14, 16, v241
	s_delay_alu instid0(VALU_DEP_2)
	v_pack_b32_f16 v1, v1, v2
	ds_store_2addr_b32 v222, v1, v0 offset0:40 offset1:50
	s_waitcnt lgkmcnt(0)
	s_barrier
	buffer_gl0_inv
	ds_load_2addr_b32 v[0:1], v107 offset0:128 offset1:224
	s_waitcnt lgkmcnt(0)
	v_lshrrev_b32_e32 v2, 16, v1
	v_mul_f16_e64 v3, v141, v1
	s_delay_alu instid0(VALU_DEP_2) | instskip(NEXT) | instid1(VALU_DEP_2)
	v_mul_f16_e64 v34, v141, v2
	v_fma_f16 v35, v234, v2, -v3
	ds_load_2addr_b32 v[2:3], v98 offset0:64 offset1:160
	v_fmac_f16_e64 v34, v234, v1
	s_waitcnt lgkmcnt(0)
	v_lshrrev_b32_e32 v4, 16, v2
	v_mul_f16_e64 v5, v190, v2
	s_delay_alu instid0(VALU_DEP_2) | instskip(NEXT) | instid1(VALU_DEP_2)
	v_mul_f16_e64 v15, v190, v4
	v_fma_f16 v24, v235, v4, -v5
	ds_load_2addr_b32 v[4:5], v123 offset0:64 offset1:160
	v_fmac_f16_e64 v15, v235, v2
	ds_load_2addr_b32 v[1:2], v136 offset0:64 offset1:160
	s_waitcnt lgkmcnt(1)
	v_lshrrev_b32_e32 v6, 16, v5
	v_mul_f16_e64 v7, v143, v5
	s_delay_alu instid0(VALU_DEP_2) | instskip(NEXT) | instid1(VALU_DEP_2)
	v_mul_f16_e64 v25, v143, v6
	v_fma_f16 v26, v236, v6, -v7
	ds_load_2addr_b32 v[6:7], v119 offset0:128 offset1:224
	v_fmac_f16_e64 v25, v236, v5
	v_lshrrev_b32_e32 v5, 16, v3
	s_delay_alu instid0(VALU_DEP_1) | instskip(NEXT) | instid1(VALU_DEP_1)
	v_mul_f16_e64 v37, v173, v5
	v_fmac_f16_e32 v37, v61, v3
	v_mul_f16_e64 v3, v173, v3
	s_waitcnt lgkmcnt(0)
	v_lshrrev_b32_e32 v8, 16, v6
	v_mul_f16_e64 v9, v167, v6
	s_delay_alu instid0(VALU_DEP_3) | instskip(NEXT) | instid1(VALU_DEP_3)
	v_fma_f16 v42, v61, v5, -v3
	v_mul_f16_e64 v27, v167, v8
	s_delay_alu instid0(VALU_DEP_3) | instskip(SKIP_2) | instid1(VALU_DEP_4)
	v_fma_f16 v39, v237, v8, -v9
	v_lshrrev_b32_e32 v8, 16, v7
	v_mul_f16_e64 v9, v197, v1
	v_fmac_f16_e64 v27, v237, v6
	v_lshrrev_b32_e32 v6, 16, v1
	s_delay_alu instid0(VALU_DEP_4) | instskip(SKIP_2) | instid1(VALU_DEP_4)
	v_mul_f16_e64 v41, v146, v8
	v_add_f16_e32 v49, v24, v39
	v_sub_f16_e32 v50, v24, v39
	v_mul_f16_e64 v32, v197, v6
	s_delay_alu instid0(VALU_DEP_4)
	v_fmac_f16_e32 v41, v63, v7
	v_mul_f16_e64 v7, v146, v7
	v_fma_f16 v33, v60, v6, -v9
	ds_load_2addr_b32 v[5:6], v95 offset1:96
	v_fmac_f16_e32 v32, v60, v1
	v_lshrrev_b32_e32 v1, 16, v2
	v_fma_f16 v45, v63, v8, -v7
	s_delay_alu instid0(VALU_DEP_2) | instskip(NEXT) | instid1(VALU_DEP_1)
	v_mul_f16_e32 v7, v106, v1
	v_fmac_f16_e64 v7, v246, v2
	v_mul_f16_e32 v2, v106, v2
	s_delay_alu instid0(VALU_DEP_1) | instskip(SKIP_4) | instid1(VALU_DEP_2)
	v_fma_f16 v16, v246, v1, -v2
	ds_load_2addr_b32 v[1:2], v134 offset0:128 offset1:224
	s_waitcnt lgkmcnt(1)
	v_lshrrev_b32_e32 v3, 16, v5
	v_mul_f16_e64 v9, v171, v5
	v_mul_f16_e64 v43, v171, v3
	s_delay_alu instid0(VALU_DEP_2) | instskip(SKIP_1) | instid1(VALU_DEP_3)
	v_fma_f16 v44, v62, v3, -v9
	v_lshrrev_b32_e32 v3, 16, v6
	v_fmac_f16_e32 v43, v62, v5
	v_mul_f16_e64 v5, v161, v6
	s_delay_alu instid0(VALU_DEP_3) | instskip(NEXT) | instid1(VALU_DEP_2)
	v_mul_f16_e64 v21, v161, v3
	v_fma_f16 v23, v248, v3, -v5
	s_delay_alu instid0(VALU_DEP_2) | instskip(SKIP_3) | instid1(VALU_DEP_2)
	v_fmac_f16_e64 v21, v248, v6
	s_waitcnt lgkmcnt(0)
	v_lshrrev_b32_e32 v6, 16, v1
	v_mul_f16_e32 v8, v104, v1
	v_mul_f16_e32 v28, v104, v6
	s_delay_alu instid0(VALU_DEP_2)
	v_fma_f16 v36, v247, v6, -v8
	ds_load_2addr_b32 v[5:6], v176 offset0:64 offset1:160
	v_fmac_f16_e64 v28, v247, v1
	s_waitcnt lgkmcnt(0)
	v_lshrrev_b32_e32 v3, 16, v5
	v_mul_f16_e32 v8, v102, v5
	v_lshrrev_b32_e32 v12, 16, v6
	v_mul_f16_e32 v13, v117, v6
	s_delay_alu instid0(VALU_DEP_4) | instskip(NEXT) | instid1(VALU_DEP_4)
	v_mul_f16_e32 v30, v102, v3
	v_fma_f16 v38, v249, v3, -v8
	v_lshrrev_b32_e32 v3, 16, v2
	v_mul_f16_e32 v17, v117, v12
	v_fma_f16 v22, v59, v12, -v13
	v_fmac_f16_e64 v30, v249, v5
	v_mul_f16_e64 v5, v138, v2
	v_mul_f16_e64 v11, v138, v3
	v_fmac_f16_e32 v17, v59, v6
	v_lshrrev_b32_e32 v12, 16, v240
	s_delay_alu instid0(VALU_DEP_4) | instskip(NEXT) | instid1(VALU_DEP_4)
	v_fma_f16 v20, v57, v3, -v5
	v_fmac_f16_e32 v11, v57, v2
	ds_load_2addr_b32 v[1:2], v135 offset1:96
	s_waitcnt lgkmcnt(0)
	v_lshrrev_b32_e32 v8, 16, v1
	v_mul_f16_e32 v9, v121, v1
	s_delay_alu instid0(VALU_DEP_2) | instskip(NEXT) | instid1(VALU_DEP_2)
	v_mul_f16_e32 v6, v121, v8
	v_fma_f16 v8, v56, v8, -v9
	ds_load_2addr_b32 v[9:10], v124 offset0:64 offset1:160
	v_fmac_f16_e32 v6, v56, v1
	s_waitcnt lgkmcnt(0)
	v_lshrrev_b32_e32 v3, 16, v9
	v_mul_f16_e32 v5, v113, v9
	v_lshrrev_b32_e32 v13, 16, v10
	s_delay_alu instid0(VALU_DEP_3) | instskip(NEXT) | instid1(VALU_DEP_3)
	v_mul_f16_e32 v19, v113, v3
	v_fma_f16 v18, v58, v3, -v5
	v_lshrrev_b32_e32 v5, 16, v2
	v_lshrrev_b32_e32 v3, 16, v239
	s_delay_alu instid0(VALU_DEP_4) | instskip(SKIP_1) | instid1(VALU_DEP_3)
	v_fmac_f16_e32 v19, v58, v9
	v_lshrrev_b32_e32 v9, 16, v4
	v_mul_f16_e32 v1, v3, v5
	s_delay_alu instid0(VALU_DEP_1) | instskip(SKIP_1) | instid1(VALU_DEP_4)
	v_fmac_f16_e64 v1, v239, v2
	v_mul_f16_e32 v2, v3, v2
	v_mul_f16_e32 v3, v12, v9
	;; [unrolled: 1-line block ×3, first 2 shown]
	s_delay_alu instid0(VALU_DEP_3) | instskip(NEXT) | instid1(VALU_DEP_3)
	v_fma_f16 v2, v239, v5, -v2
	v_fmac_f16_e64 v3, v240, v4
	v_mul_f16_e32 v4, v14, v13
	v_mul_f16_e32 v14, v14, v10
	v_fma_f16 v9, v240, v9, -v12
	s_delay_alu instid0(VALU_DEP_3) | instskip(NEXT) | instid1(VALU_DEP_3)
	v_fmac_f16_e64 v4, v241, v10
	v_fma_f16 v5, v241, v13, -v14
	ds_load_2addr_b32 v[13:14], v118 offset1:96
	v_lshrrev_b32_e32 v10, 16, v242
	s_waitcnt lgkmcnt(0)
	v_lshrrev_b32_e32 v12, 16, v13
	s_delay_alu instid0(VALU_DEP_2) | instskip(NEXT) | instid1(VALU_DEP_2)
	v_mul_f16_e32 v40, v10, v13
	v_mul_f16_e32 v10, v10, v12
	s_delay_alu instid0(VALU_DEP_2) | instskip(NEXT) | instid1(VALU_DEP_2)
	v_fma_f16 v12, v242, v12, -v40
	v_fmac_f16_e64 v10, v242, v13
	v_lshrrev_b32_e32 v13, 16, v14
	s_delay_alu instid0(VALU_DEP_1) | instskip(SKIP_1) | instid1(VALU_DEP_2)
	v_mul_f16_e32 v40, v46, v13
	v_mul_f16_e32 v46, v46, v14
	v_fmac_f16_e64 v40, v195, v14
	s_delay_alu instid0(VALU_DEP_2)
	v_fma_f16 v46, v195, v13, -v46
	ds_load_2addr_b32 v[13:14], v125 offset1:96
	v_add_f16_e32 v51, v25, v40
	v_sub_f16_e32 v52, v25, v40
	s_waitcnt lgkmcnt(0)
	v_lshrrev_b32_e32 v47, 16, v13
	s_delay_alu instid0(VALU_DEP_1) | instskip(SKIP_2) | instid1(VALU_DEP_3)
	v_add_f16_e32 v48, v47, v24
	v_add_f16_e32 v24, v13, v15
	v_fmac_f16_e32 v47, -0.5, v49
	v_add_f16_e32 v48, v48, v39
	s_delay_alu instid0(VALU_DEP_3) | instskip(SKIP_4) | instid1(VALU_DEP_4)
	v_add_f16_e32 v49, v24, v27
	v_add_f16_e32 v24, v15, v27
	v_sub_f16_e32 v15, v15, v27
	v_add_f16_e32 v27, v26, v46
	v_add_f16_e32 v39, v35, v26
	v_fma_f16 v13, -0.5, v24, v13
	s_delay_alu instid0(VALU_DEP_4) | instskip(NEXT) | instid1(VALU_DEP_4)
	v_fmamk_f16 v58, v15, 0x3aee, v47
	v_fmac_f16_e32 v35, -0.5, v27
	v_add_f16_e32 v27, v34, v25
	v_fmac_f16_e32 v34, -0.5, v51
	v_sub_f16_e32 v51, v26, v46
	v_fmac_f16_e32 v47, 0xbaee, v15
	v_fmamk_f16 v25, v52, 0x3aee, v35
	v_fmac_f16_e32 v35, 0xbaee, v52
	v_add_f16_e32 v53, v27, v40
	v_add_f16_e32 v46, v39, v46
	v_fmamk_f16 v57, v50, 0xbaee, v13
	v_mul_f16_e32 v54, 0xbaee, v25
	v_mul_f16_e32 v55, 0.5, v25
	v_fmamk_f16 v25, v51, 0xbaee, v34
	v_fmac_f16_e32 v34, 0x3aee, v51
	v_mul_f16_e32 v15, 0xbaee, v35
	v_mul_f16_e32 v35, -0.5, v35
	v_fmac_f16_e32 v13, 0x3aee, v50
	v_fmac_f16_e32 v54, 0.5, v25
	v_fmac_f16_e32 v55, 0x3aee, v25
	v_fmac_f16_e32 v15, -0.5, v34
	v_fmac_f16_e32 v35, 0x3aee, v34
	v_add_f16_e32 v25, v49, v53
	v_add_f16_e32 v26, v48, v46
	v_sub_f16_e32 v34, v49, v53
	v_sub_f16_e32 v46, v48, v46
	v_add_f16_e32 v48, v13, v15
	v_add_f16_e32 v49, v47, v35
	v_pack_b32_f16 v56, v25, v26
	v_add_f16_e32 v24, v57, v54
	v_add_f16_e32 v25, v58, v55
	v_pack_b32_f16 v34, v34, v46
	v_pack_b32_f16 v48, v48, v49
	v_sub_f16_e32 v13, v13, v15
	v_sub_f16_e32 v15, v58, v55
	v_pack_b32_f16 v59, v24, v25
	ds_load_2addr_b32 v[24:25], v110 offset0:64 offset1:160
	ds_load_2addr_b32 v[26:27], v137 offset0:64 offset1:160
	ds_load_2addr_b32 v[39:40], v178 offset0:128 offset1:224
	s_waitcnt lgkmcnt(0)
	s_barrier
	buffer_gl0_inv
	ds_store_2addr_b32 v169, v48, v34 offset0:120 offset1:180
	v_sub_f16_e32 v34, v57, v54
	v_sub_f16_e32 v35, v47, v35
	v_add_f16_e32 v46, v42, v45
	ds_store_2addr_b32 v169, v56, v59 offset1:60
	v_pack_b32_f16 v15, v34, v15
	scratch_load_b32 v34, off, off offset:264 ; 4-byte Folded Reload
	v_pack_b32_f16 v13, v13, v35
	v_add_f16_e32 v35, v14, v37
	s_delay_alu instid0(VALU_DEP_1) | instskip(SKIP_4) | instid1(VALU_DEP_1)
	v_add_f16_e32 v35, v35, v41
	s_waitcnt vmcnt(0)
	ds_store_2addr_b32 v34, v15, v13 offset0:112 offset1:172
	v_lshrrev_b32_e32 v13, 16, v24
	v_lshrrev_b32_e32 v34, 16, v166
	v_mul_f16_e32 v15, v34, v24
	s_delay_alu instid0(VALU_DEP_3) | instskip(NEXT) | instid1(VALU_DEP_2)
	v_mul_f16_e32 v34, v34, v13
	v_fma_f16 v13, v166, v13, -v15
	s_delay_alu instid0(VALU_DEP_2) | instskip(SKIP_4) | instid1(VALU_DEP_4)
	v_fmac_f16_e64 v34, v166, v24
	v_add_f16_e32 v15, v37, v41
	v_lshrrev_b32_e32 v24, 16, v14
	v_sub_f16_e32 v37, v37, v41
	v_add_f16_e32 v41, v44, v13
	v_fmac_f16_e32 v14, -0.5, v15
	s_delay_alu instid0(VALU_DEP_4) | instskip(SKIP_3) | instid1(VALU_DEP_4)
	v_add_f16_e32 v15, v24, v42
	v_sub_f16_e32 v42, v42, v45
	v_fmac_f16_e32 v24, -0.5, v46
	v_add_f16_e32 v46, v43, v34
	v_add_f16_e32 v15, v15, v45
	;; [unrolled: 1-line block ×3, first 2 shown]
	v_fmac_f16_e32 v33, -0.5, v41
	v_add_f16_e32 v41, v32, v43
	v_sub_f16_e32 v43, v43, v34
	v_fmac_f16_e32 v32, -0.5, v46
	v_fmamk_f16 v48, v37, 0x3aee, v24
	v_fmac_f16_e32 v24, 0xbaee, v37
	v_add_f16_e32 v34, v41, v34
	v_sub_f16_e32 v41, v44, v13
	v_fmamk_f16 v44, v43, 0x3aee, v33
	v_add_f16_e32 v13, v45, v13
	v_fmac_f16_e32 v33, 0xbaee, v43
	s_delay_alu instid0(VALU_DEP_4) | instskip(NEXT) | instid1(VALU_DEP_4)
	v_fmamk_f16 v46, v41, 0xbaee, v32
	v_mul_f16_e32 v45, 0xbaee, v44
	v_mul_f16_e32 v44, 0.5, v44
	v_add_f16_e32 v47, v15, v13
	v_fmac_f16_e32 v32, 0x3aee, v41
	v_mul_f16_e32 v37, 0xbaee, v33
	v_fmac_f16_e32 v45, 0.5, v46
	v_fmac_f16_e32 v44, 0x3aee, v46
	v_add_f16_e32 v46, v35, v34
	v_mul_f16_e32 v33, -0.5, v33
	v_fmac_f16_e32 v37, -0.5, v32
	v_sub_f16_e32 v13, v15, v13
	v_add_f16_e32 v50, v48, v44
	v_pack_b32_f16 v46, v46, v47
	v_fmamk_f16 v47, v42, 0xbaee, v14
	v_fmac_f16_e32 v14, 0x3aee, v42
	v_fmac_f16_e32 v33, 0x3aee, v32
	v_sub_f16_e32 v32, v35, v34
	s_delay_alu instid0(VALU_DEP_4) | instskip(NEXT) | instid1(VALU_DEP_4)
	v_add_f16_e32 v49, v47, v45
	v_add_f16_e32 v15, v14, v37
	s_delay_alu instid0(VALU_DEP_4) | instskip(NEXT) | instid1(VALU_DEP_4)
	v_add_f16_e32 v34, v24, v33
	v_pack_b32_f16 v13, v32, v13
	v_sub_f16_e32 v24, v24, v33
	v_add_f16_e32 v33, v28, v30
	v_sub_f16_e32 v32, v36, v38
	v_pack_b32_f16 v15, v15, v34
	v_add_f16_e32 v34, v16, v23
	v_pack_b32_f16 v49, v49, v50
	ds_store_2addr_b32 v170, v15, v13 offset0:120 offset1:180
	v_sub_f16_e32 v13, v14, v37
	v_sub_f16_e32 v14, v47, v45
	v_sub_f16_e32 v15, v48, v44
	ds_store_2addr_b32 v170, v46, v49 offset1:60
	v_pack_b32_f16 v13, v13, v24
	v_pack_b32_f16 v14, v14, v15
	scratch_load_b32 v15, off, off offset:260 ; 4-byte Folded Reload
	s_waitcnt vmcnt(0)
	ds_store_2addr_b32 v15, v14, v13 offset0:112 offset1:172
	v_lshrrev_b32_e32 v13, 16, v25
	v_lshrrev_b32_e32 v15, 16, v168
	s_delay_alu instid0(VALU_DEP_1) | instskip(SKIP_1) | instid1(VALU_DEP_2)
	v_mul_f16_e32 v14, v15, v13
	v_mul_f16_e32 v15, v15, v25
	v_fmac_f16_e64 v14, v168, v25
	s_delay_alu instid0(VALU_DEP_2) | instskip(SKIP_2) | instid1(VALU_DEP_4)
	v_fma_f16 v13, v168, v13, -v15
	v_lshrrev_b32_e32 v15, 16, v26
	v_add_f16_e32 v25, v36, v38
	v_add_f16_e32 v35, v21, v14
	s_delay_alu instid0(VALU_DEP_3) | instskip(NEXT) | instid1(VALU_DEP_3)
	v_add_f16_e32 v24, v15, v36
	v_fmac_f16_e32 v15, -0.5, v25
	v_add_f16_e32 v25, v26, v28
	v_sub_f16_e32 v28, v28, v30
	v_fma_f16 v26, -0.5, v33, v26
	v_add_f16_e32 v24, v24, v38
	s_delay_alu instid0(VALU_DEP_4)
	v_add_f16_e32 v25, v25, v30
	v_add_f16_e32 v30, v23, v13
	v_sub_f16_e32 v23, v23, v13
	v_add_f16_e32 v13, v34, v13
	v_fmamk_f16 v33, v32, 0xbaee, v26
	v_fmac_f16_e32 v26, 0x3aee, v32
	v_fmac_f16_e32 v16, -0.5, v30
	v_add_f16_e32 v30, v7, v21
	v_sub_f16_e32 v21, v21, v14
	v_fmac_f16_e32 v7, -0.5, v35
	v_add_f16_e32 v36, v24, v13
	v_sub_f16_e32 v13, v24, v13
	v_add_f16_e32 v14, v30, v14
	v_fmamk_f16 v30, v21, 0x3aee, v16
	v_fmamk_f16 v35, v23, 0xbaee, v7
	v_fmac_f16_e32 v16, 0xbaee, v21
	v_fmac_f16_e32 v7, 0x3aee, v23
	s_delay_alu instid0(VALU_DEP_4) | instskip(SKIP_1) | instid1(VALU_DEP_4)
	v_mul_f16_e32 v34, 0xbaee, v30
	v_mul_f16_e32 v30, 0.5, v30
	v_mul_f16_e32 v21, 0xbaee, v16
	v_mul_f16_e32 v16, -0.5, v16
	s_delay_alu instid0(VALU_DEP_4) | instskip(NEXT) | instid1(VALU_DEP_4)
	v_fmac_f16_e32 v34, 0.5, v35
	v_fmac_f16_e32 v30, 0x3aee, v35
	v_add_f16_e32 v35, v25, v14
	v_fmac_f16_e32 v21, -0.5, v7
	v_fmac_f16_e32 v16, 0x3aee, v7
	v_sub_f16_e32 v7, v25, v14
	v_add_f16_e32 v37, v33, v34
	v_pack_b32_f16 v35, v35, v36
	v_fmamk_f16 v36, v28, 0x3aee, v15
	v_fmac_f16_e32 v15, 0xbaee, v28
	v_add_f16_e32 v14, v26, v21
	v_pack_b32_f16 v7, v7, v13
	v_sub_f16_e32 v13, v26, v21
	v_add_f16_e32 v21, v20, v22
	v_add_f16_e32 v23, v15, v16
	v_sub_f16_e32 v15, v15, v16
	v_add_f16_e32 v16, v27, v11
	v_add_f16_e32 v38, v36, v30
	s_delay_alu instid0(VALU_DEP_4) | instskip(NEXT) | instid1(VALU_DEP_4)
	v_pack_b32_f16 v14, v14, v23
	v_pack_b32_f16 v13, v13, v15
	v_lshrrev_b32_e32 v15, 16, v27
	v_add_f16_e32 v16, v16, v17
	v_pack_b32_f16 v37, v37, v38
	ds_store_2addr_b32 v179, v14, v7 offset0:120 offset1:180
	v_sub_f16_e32 v7, v33, v34
	v_sub_f16_e32 v14, v36, v30
	v_add_nc_u32_e32 v36, 0x1200, v125
	ds_store_2addr_b32 v179, v35, v37 offset1:60
	v_pack_b32_f16 v7, v7, v14
	scratch_load_b32 v14, off, off offset:276 ; 4-byte Folded Reload
	s_waitcnt vmcnt(0)
	ds_store_2addr_b32 v14, v7, v13 offset0:112 offset1:172
	v_lshrrev_b32_e32 v14, 16, v165
	v_lshrrev_b32_e32 v7, 16, v39
	s_delay_alu instid0(VALU_DEP_2) | instskip(NEXT) | instid1(VALU_DEP_2)
	v_mul_f16_e32 v13, v14, v39
	v_mul_f16_e32 v14, v14, v7
	s_delay_alu instid0(VALU_DEP_2) | instskip(SKIP_1) | instid1(VALU_DEP_3)
	v_fma_f16 v7, v165, v7, -v13
	v_add_f16_e32 v13, v11, v17
	v_fmac_f16_e64 v14, v165, v39
	v_sub_f16_e32 v11, v11, v17
	s_delay_alu instid0(VALU_DEP_4) | instskip(NEXT) | instid1(VALU_DEP_4)
	v_add_f16_e32 v17, v18, v7
	v_fmac_f16_e32 v27, -0.5, v13
	v_add_f16_e32 v13, v15, v20
	v_sub_f16_e32 v20, v20, v22
	v_fmac_f16_e32 v15, -0.5, v21
	v_add_f16_e32 v21, v8, v18
	v_fmac_f16_e32 v8, -0.5, v17
	v_add_f16_e32 v13, v13, v22
	v_add_f16_e32 v17, v6, v19
	;; [unrolled: 1-line block ×3, first 2 shown]
	v_sub_f16_e32 v19, v19, v14
	v_fmamk_f16 v24, v11, 0x3aee, v15
	v_fmac_f16_e32 v15, 0xbaee, v11
	v_add_f16_e32 v14, v17, v14
	v_fmac_f16_e32 v6, -0.5, v22
	v_sub_f16_e32 v17, v18, v7
	v_fmamk_f16 v18, v19, 0x3aee, v8
	v_add_f16_e32 v7, v21, v7
	v_fmac_f16_e32 v8, 0xbaee, v19
	s_delay_alu instid0(VALU_DEP_4) | instskip(NEXT) | instid1(VALU_DEP_4)
	v_fmamk_f16 v22, v17, 0xbaee, v6
	v_mul_f16_e32 v21, 0xbaee, v18
	v_mul_f16_e32 v18, 0.5, v18
	v_add_f16_e32 v23, v13, v7
	v_fmac_f16_e32 v6, 0x3aee, v17
	v_mul_f16_e32 v11, 0xbaee, v8
	v_fmac_f16_e32 v21, 0.5, v22
	v_fmac_f16_e32 v18, 0x3aee, v22
	v_add_f16_e32 v22, v16, v14
	v_mul_f16_e32 v8, -0.5, v8
	v_fmac_f16_e32 v11, -0.5, v6
	v_sub_f16_e32 v7, v13, v7
	v_add_f16_e32 v26, v24, v18
	v_pack_b32_f16 v22, v22, v23
	v_fmamk_f16 v23, v20, 0xbaee, v27
	v_fmac_f16_e32 v27, 0x3aee, v20
	v_fmac_f16_e32 v8, 0x3aee, v6
	v_sub_f16_e32 v6, v16, v14
	s_delay_alu instid0(VALU_DEP_4) | instskip(NEXT) | instid1(VALU_DEP_4)
	v_add_f16_e32 v25, v23, v21
	v_add_f16_e32 v13, v27, v11
	s_delay_alu instid0(VALU_DEP_4) | instskip(NEXT) | instid1(VALU_DEP_4)
	v_add_f16_e32 v14, v15, v8
	v_pack_b32_f16 v6, v6, v7
	v_sub_f16_e32 v8, v15, v8
	v_sub_f16_e32 v7, v23, v21
	v_pack_b32_f16 v25, v25, v26
	v_pack_b32_f16 v13, v13, v14
	v_add_f16_e32 v14, v9, v12
	ds_store_2addr_b32 v177, v22, v25 offset1:60
	ds_store_2addr_b32 v177, v13, v6 offset0:120 offset1:180
	v_sub_f16_e32 v6, v27, v11
	v_sub_f16_e32 v11, v24, v18
	v_add_f16_e32 v13, v0, v3
	s_delay_alu instid0(VALU_DEP_3)
	v_pack_b32_f16 v6, v6, v8
	scratch_load_b32 v8, off, off offset:272 ; 4-byte Folded Reload
	v_pack_b32_f16 v7, v7, v11
	v_lshrrev_b32_e32 v11, 16, v0
	s_waitcnt vmcnt(0)
	ds_store_2addr_b32 v8, v7, v6 offset0:112 offset1:172
	v_lshrrev_b32_e32 v6, 16, v40
	v_lshrrev_b32_e32 v8, 16, v162
	s_delay_alu instid0(VALU_DEP_1) | instskip(SKIP_1) | instid1(VALU_DEP_2)
	v_mul_f16_e32 v7, v8, v6
	v_mul_f16_e32 v8, v8, v40
	v_fmac_f16_e64 v7, v162, v40
	s_delay_alu instid0(VALU_DEP_2) | instskip(SKIP_2) | instid1(VALU_DEP_2)
	v_fma_f16 v6, v162, v6, -v8
	v_add_f16_e32 v8, v3, v10
	v_sub_f16_e32 v3, v3, v10
	v_fmac_f16_e32 v0, -0.5, v8
	v_add_f16_e32 v8, v11, v9
	v_sub_f16_e32 v9, v9, v12
	v_fmac_f16_e32 v11, -0.5, v14
	v_add_f16_e32 v14, v4, v7
	s_delay_alu instid0(VALU_DEP_4)
	v_add_f16_e32 v8, v8, v12
	v_add_f16_e32 v12, v13, v10
	;; [unrolled: 1-line block ×4, first 2 shown]
	v_sub_f16_e32 v5, v5, v6
	v_fmamk_f16 v16, v3, 0x3aee, v11
	v_fmac_f16_e32 v11, 0xbaee, v3
	v_fmac_f16_e32 v2, -0.5, v10
	v_add_f16_e32 v10, v1, v4
	v_sub_f16_e32 v4, v4, v7
	v_fmac_f16_e32 v1, -0.5, v14
	v_add_f16_e32 v6, v13, v6
	s_delay_alu instid0(VALU_DEP_4) | instskip(NEXT) | instid1(VALU_DEP_4)
	v_add_f16_e32 v7, v10, v7
	v_fmamk_f16 v10, v4, 0x3aee, v2
	s_delay_alu instid0(VALU_DEP_4)
	v_fmamk_f16 v14, v5, 0xbaee, v1
	v_fmac_f16_e32 v2, 0xbaee, v4
	v_add_f16_e32 v15, v8, v6
	v_fmac_f16_e32 v1, 0x3aee, v5
	v_mul_f16_e32 v13, 0xbaee, v10
	v_mul_f16_e32 v10, 0.5, v10
	v_mul_f16_e32 v3, 0xbaee, v2
	v_mul_f16_e32 v2, -0.5, v2
	v_sub_f16_e32 v4, v8, v6
	v_fmac_f16_e32 v13, 0.5, v14
	v_fmac_f16_e32 v10, 0x3aee, v14
	v_add_f16_e32 v14, v12, v7
	v_fmac_f16_e32 v3, -0.5, v1
	v_fmac_f16_e32 v2, 0x3aee, v1
	v_sub_f16_e32 v1, v12, v7
	v_add_f16_e32 v18, v16, v10
	v_pack_b32_f16 v14, v14, v15
	v_fmamk_f16 v15, v9, 0xbaee, v0
	v_fmac_f16_e32 v0, 0x3aee, v9
	v_add_f16_e32 v6, v11, v2
	v_sub_f16_e32 v2, v11, v2
	v_pack_b32_f16 v1, v1, v4
	v_add_f16_e32 v17, v15, v13
	v_add_f16_e32 v5, v0, v3
	v_sub_f16_e32 v0, v0, v3
	v_sub_f16_e32 v3, v16, v10
	s_delay_alu instid0(VALU_DEP_4) | instskip(NEXT) | instid1(VALU_DEP_4)
	v_pack_b32_f16 v17, v17, v18
	v_pack_b32_f16 v5, v5, v6
	s_delay_alu instid0(VALU_DEP_4) | instskip(SKIP_4) | instid1(VALU_DEP_1)
	v_pack_b32_f16 v0, v0, v2
	scratch_load_b32 v2, off, off offset:268 ; 4-byte Folded Reload
	ds_store_2addr_b32 v175, v14, v17 offset1:60
	ds_store_2addr_b32 v175, v5, v1 offset0:120 offset1:180
	v_sub_f16_e32 v1, v15, v13
	v_pack_b32_f16 v1, v1, v3
	s_waitcnt vmcnt(0)
	ds_store_2addr_b32 v2, v1, v0 offset0:112 offset1:172
	s_waitcnt lgkmcnt(0)
	s_barrier
	buffer_gl0_inv
	ds_load_2addr_b32 v[0:1], v95 offset1:96
	s_waitcnt lgkmcnt(0)
	v_lshrrev_b32_e32 v2, 16, v0
	v_mul_f16_e32 v3, v94, v0
	s_delay_alu instid0(VALU_DEP_2) | instskip(NEXT) | instid1(VALU_DEP_2)
	v_mul_f16_e32 v4, v94, v2
	v_fma_f16 v3, v69, v2, -v3
	v_mul_f16_e32 v2, v72, v1
	s_delay_alu instid0(VALU_DEP_3) | instskip(SKIP_1) | instid1(VALU_DEP_1)
	v_fmac_f16_e32 v4, v69, v0
	v_lshrrev_b32_e32 v0, 16, v1
	v_mul_f16_e32 v25, v72, v0
	s_delay_alu instid0(VALU_DEP_4) | instskip(NEXT) | instid1(VALU_DEP_2)
	v_fma_f16 v26, v81, v0, -v2
	v_fmac_f16_e32 v25, v81, v1
	ds_load_2addr_b32 v[0:1], v123 offset0:64 offset1:160
	s_waitcnt lgkmcnt(0)
	v_lshrrev_b32_e32 v2, 16, v1
	v_mul_f16_e32 v5, v109, v1
	s_delay_alu instid0(VALU_DEP_2) | instskip(NEXT) | instid1(VALU_DEP_2)
	v_mul_f16_e32 v6, v109, v2
	v_fma_f16 v5, v90, v2, -v5
	s_delay_alu instid0(VALU_DEP_2)
	v_fmac_f16_e32 v6, v90, v1
	ds_load_2addr_b32 v[1:2], v125 offset1:96
	s_waitcnt lgkmcnt(0)
	v_sub_f16_e32 v27, v2, v4
	v_lshrrev_b32_e32 v4, 16, v1
	v_sub_f16_e32 v6, v1, v6
	v_lshrrev_b32_e32 v7, 16, v2
	s_delay_alu instid0(VALU_DEP_4) | instskip(NEXT) | instid1(VALU_DEP_4)
	v_fma_f16 v2, v2, 2.0, -v27
	v_sub_f16_e32 v5, v4, v5
	s_delay_alu instid0(VALU_DEP_4) | instskip(NEXT) | instid1(VALU_DEP_4)
	v_fma_f16 v1, v1, 2.0, -v6
	v_sub_f16_e32 v32, v7, v3
	s_delay_alu instid0(VALU_DEP_3) | instskip(SKIP_1) | instid1(VALU_DEP_3)
	v_fma_f16 v4, v4, 2.0, -v5
	v_pack_b32_f16 v30, v6, v5
	v_pack_b32_f16 v27, v27, v32
	s_delay_alu instid0(VALU_DEP_3) | instskip(SKIP_1) | instid1(VALU_DEP_1)
	v_pack_b32_f16 v28, v1, v4
	v_fma_f16 v1, v7, 2.0, -v32
	v_pack_b32_f16 v33, v2, v1
	ds_load_2addr_b32 v[1:2], v137 offset0:64 offset1:160
	ds_load_2addr_b32 v[3:4], v124 offset0:64 offset1:160
	;; [unrolled: 1-line block ×6, first 2 shown]
	ds_load_2addr_b32 v[13:14], v135 offset1:96
	ds_load_2addr_b32 v[15:16], v118 offset1:96
	ds_load_2addr_b32 v[17:18], v98 offset0:64 offset1:160
	ds_load_2addr_b32 v[19:20], v110 offset0:64 offset1:160
	ds_load_2addr_b32 v[21:22], v134 offset0:128 offset1:224
	ds_load_2addr_b32 v[23:24], v178 offset0:128 offset1:224
	s_waitcnt lgkmcnt(0)
	s_barrier
	buffer_gl0_inv
	ds_store_b32 v125, v30 offset:1440
	ds_store_2addr_b32 v125, v28, v33 offset1:96
	v_lshrrev_b32_e32 v28, 16, v1
	v_sub_f16_e32 v25, v1, v25
	s_delay_alu instid0(VALU_DEP_2) | instskip(NEXT) | instid1(VALU_DEP_2)
	v_sub_f16_e32 v26, v28, v26
	v_fma_f16 v1, v1, 2.0, -v25
	v_mul_f16_e64 v30, v253, v20
	s_delay_alu instid0(VALU_DEP_3) | instskip(SKIP_2) | instid1(VALU_DEP_3)
	v_fma_f16 v28, v28, 2.0, -v26
	v_pack_b32_f16 v25, v25, v26
	v_mul_f16_e64 v32, v254, v24
	v_pack_b32_f16 v1, v1, v28
	v_mul_f16_e64 v28, v255, v16
	ds_store_b32 v125, v1 offset:768
	v_add_nc_u32_e32 v1, 0x600, v125
	ds_store_2addr_b32 v1, v27, v25 offset0:72 offset1:168
	v_lshrrev_b32_e32 v1, 16, v3
	v_mul_f16_e32 v25, v31, v3
	v_mul_f16_e32 v27, v29, v4
	s_delay_alu instid0(VALU_DEP_3) | instskip(NEXT) | instid1(VALU_DEP_3)
	v_mul_f16_e32 v26, v31, v1
	v_fma_f16 v1, v164, v1, -v25
	s_delay_alu instid0(VALU_DEP_2) | instskip(SKIP_1) | instid1(VALU_DEP_1)
	v_fmac_f16_e64 v26, v164, v3
	v_lshrrev_b32_e32 v3, 16, v4
	v_mul_f16_e32 v25, v29, v3
	v_fma_f16 v3, v224, v3, -v27
	s_delay_alu instid0(VALU_DEP_2) | instskip(SKIP_2) | instid1(VALU_DEP_2)
	v_fmac_f16_e64 v25, v224, v4
	v_sub_f16_e32 v4, v2, v26
	v_lshrrev_b32_e32 v26, 16, v2
	v_fma_f16 v2, v2, 2.0, -v4
	s_delay_alu instid0(VALU_DEP_2) | instskip(NEXT) | instid1(VALU_DEP_1)
	v_sub_f16_e32 v1, v26, v1
	v_fma_f16 v26, v26, 2.0, -v1
	v_pack_b32_f16 v1, v4, v1
	s_delay_alu instid0(VALU_DEP_2)
	v_pack_b32_f16 v2, v2, v26
	ds_store_b32 v243, v2
	ds_store_b32 v243, v1 offset:1440
	v_lshrrev_b32_e32 v1, 16, v7
	v_mul_f16_e64 v2, v244, v7
	v_mul_f16_e64 v26, v250, v12
	s_delay_alu instid0(VALU_DEP_3) | instskip(NEXT) | instid1(VALU_DEP_3)
	v_mul_f16_e64 v4, v244, v1
	v_fma_f16 v1, v214, v1, -v2
	v_sub_f16_e32 v2, v5, v25
	v_lshrrev_b32_e32 v25, 16, v6
	s_delay_alu instid0(VALU_DEP_4) | instskip(SKIP_1) | instid1(VALU_DEP_4)
	v_fmac_f16_e64 v4, v214, v7
	v_lshrrev_b32_e32 v7, 16, v5
	v_fma_f16 v5, v5, 2.0, -v2
	s_delay_alu instid0(VALU_DEP_4) | instskip(NEXT) | instid1(VALU_DEP_4)
	v_sub_f16_e32 v1, v25, v1
	v_sub_f16_e32 v4, v6, v4
	s_delay_alu instid0(VALU_DEP_4) | instskip(NEXT) | instid1(VALU_DEP_2)
	v_sub_f16_e32 v3, v7, v3
	v_fma_f16 v6, v6, 2.0, -v4
	s_delay_alu instid0(VALU_DEP_2) | instskip(SKIP_2) | instid1(VALU_DEP_3)
	v_fma_f16 v7, v7, 2.0, -v3
	v_pack_b32_f16 v2, v2, v3
	v_lshrrev_b32_e32 v3, 16, v9
	v_pack_b32_f16 v5, v5, v7
	v_fma_f16 v7, v25, 2.0, -v1
	v_pack_b32_f16 v1, v4, v1
	s_delay_alu instid0(VALU_DEP_2) | instskip(SKIP_4) | instid1(VALU_DEP_2)
	v_pack_b32_f16 v6, v6, v7
	v_add_nc_u32_e32 v7, 0xa00, v125
	ds_store_2addr_b32 v7, v5, v6 offset0:104 offset1:200
	v_lshrrev_b32_e32 v5, 16, v8
	v_mul_f16_e64 v7, v133, v8
	v_mul_f16_e64 v6, v133, v5
	s_delay_alu instid0(VALU_DEP_2) | instskip(SKIP_1) | instid1(VALU_DEP_3)
	v_fma_f16 v5, v207, v5, -v7
	v_lshrrev_b32_e32 v7, 16, v11
	v_fmac_f16_e64 v6, v207, v8
	s_delay_alu instid0(VALU_DEP_3) | instskip(SKIP_1) | instid1(VALU_DEP_4)
	v_sub_f16_e32 v5, v3, v5
	v_mul_f16_e64 v8, v251, v11
	v_mul_f16_e64 v25, v251, v7
	s_delay_alu instid0(VALU_DEP_4) | instskip(NEXT) | instid1(VALU_DEP_4)
	v_sub_f16_e32 v6, v9, v6
	v_fma_f16 v3, v3, 2.0, -v5
	s_delay_alu instid0(VALU_DEP_4) | instskip(NEXT) | instid1(VALU_DEP_4)
	v_fma_f16 v7, v205, v7, -v8
	v_fmac_f16_e64 v25, v205, v11
	v_lshrrev_b32_e32 v8, 16, v12
	v_fma_f16 v9, v9, 2.0, -v6
	s_delay_alu instid0(VALU_DEP_2) | instskip(NEXT) | instid1(VALU_DEP_2)
	v_mul_f16_e64 v11, v250, v8
	v_pack_b32_f16 v3, v9, v3
	v_fma_f16 v8, v228, v8, -v26
	v_mul_f16_e64 v26, v252, v15
	s_delay_alu instid0(VALU_DEP_4)
	v_fmac_f16_e64 v11, v228, v12
	ds_store_2addr_b32 v98, v3, v2 offset0:40 offset1:208
	v_pack_b32_f16 v2, v6, v5
	v_lshrrev_b32_e32 v12, 16, v15
	ds_store_2addr_b32 v36, v1, v2 offset0:48 offset1:144
	v_lshrrev_b32_e32 v2, 16, v10
	v_sub_f16_e32 v1, v10, v25
	v_mul_f16_e64 v27, v252, v12
	v_fma_f16 v12, v227, v12, -v26
	s_delay_alu instid0(VALU_DEP_4) | instskip(NEXT) | instid1(VALU_DEP_4)
	v_sub_f16_e32 v4, v2, v7
	v_fma_f16 v3, v10, 2.0, -v1
	s_delay_alu instid0(VALU_DEP_4) | instskip(SKIP_1) | instid1(VALU_DEP_4)
	v_fmac_f16_e64 v27, v227, v15
	v_lshrrev_b32_e32 v15, 16, v16
	v_fma_f16 v2, v2, 2.0, -v4
	v_pack_b32_f16 v1, v1, v4
	s_delay_alu instid0(VALU_DEP_3) | instskip(SKIP_1) | instid1(VALU_DEP_4)
	v_mul_f16_e64 v26, v255, v15
	v_fma_f16 v15, v226, v15, -v28
	v_pack_b32_f16 v2, v3, v2
	ds_store_b32 v97, v2
	ds_store_b32 v97, v1 offset:1440
	v_lshrrev_b32_e32 v1, 16, v13
	v_sub_f16_e32 v3, v13, v11
	v_fmac_f16_e64 v26, v226, v16
	v_lshrrev_b32_e32 v16, 16, v19
	v_mul_f16_e32 v28, v126, v19
	v_sub_f16_e32 v2, v1, v8
	v_fma_f16 v4, v13, 2.0, -v3
	s_delay_alu instid0(VALU_DEP_4) | instskip(NEXT) | instid1(VALU_DEP_4)
	v_mul_f16_e32 v29, v126, v16
	v_fma_f16 v16, v218, v16, -v28
	s_delay_alu instid0(VALU_DEP_4)
	v_fma_f16 v1, v1, 2.0, -v2
	v_pack_b32_f16 v2, v3, v2
	v_sub_f16_e32 v3, v14, v27
	v_fmac_f16_e64 v29, v218, v19
	v_lshrrev_b32_e32 v19, 16, v20
	v_pack_b32_f16 v1, v4, v1
	v_lshrrev_b32_e32 v4, 16, v14
	v_fma_f16 v5, v14, 2.0, -v3
	ds_store_b32 v203, v1 offset:5760
	ds_store_b32 v203, v2 offset:7200
	v_sub_f16_e32 v6, v4, v12
	v_lshrrev_b32_e32 v2, 16, v17
	v_mul_f16_e64 v28, v253, v19
	v_fma_f16 v19, v220, v19, -v30
	v_mul_f16_e32 v30, v122, v23
	v_fma_f16 v4, v4, 2.0, -v6
	v_pack_b32_f16 v1, v3, v6
	v_sub_f16_e32 v3, v2, v15
	v_fmac_f16_e64 v28, v220, v20
	v_lshrrev_b32_e32 v20, 16, v23
	v_pack_b32_f16 v4, v5, v4
	v_sub_f16_e32 v5, v17, v26
	v_fma_f16 v2, v2, 2.0, -v3
	ds_store_b32 v200, v4 offset:5760
	ds_store_b32 v200, v1 offset:7200
	v_fma_f16 v6, v17, 2.0, -v5
	v_pack_b32_f16 v1, v5, v3
	v_mul_f16_e32 v31, v122, v20
	v_fma_f16 v20, v217, v20, -v30
	s_delay_alu instid0(VALU_DEP_4)
	v_pack_b32_f16 v2, v6, v2
	ds_store_b32 v201, v2 offset:5760
	ds_store_b32 v201, v1 offset:7200
	v_lshrrev_b32_e32 v2, 16, v18
	v_sub_f16_e32 v1, v18, v29
	v_fmac_f16_e64 v31, v217, v23
	v_lshrrev_b32_e32 v23, 16, v24
	s_delay_alu instid0(VALU_DEP_4) | instskip(NEXT) | instid1(VALU_DEP_4)
	v_sub_f16_e32 v4, v2, v16
	v_fma_f16 v3, v18, 2.0, -v1
	s_delay_alu instid0(VALU_DEP_3) | instskip(SKIP_1) | instid1(VALU_DEP_4)
	v_mul_f16_e64 v30, v254, v23
	v_fma_f16 v23, v215, v23, -v32
	v_fma_f16 v2, v2, 2.0, -v4
	v_pack_b32_f16 v1, v1, v4
	s_delay_alu instid0(VALU_DEP_4) | instskip(NEXT) | instid1(VALU_DEP_3)
	v_fmac_f16_e64 v30, v215, v24
	v_pack_b32_f16 v2, v3, v2
	ds_store_b32 v163, v2
	ds_store_b32 v163, v1 offset:1440
	v_lshrrev_b32_e32 v1, 16, v21
	v_sub_f16_e32 v3, v21, v28
	s_delay_alu instid0(VALU_DEP_2) | instskip(NEXT) | instid1(VALU_DEP_2)
	v_sub_f16_e32 v2, v1, v19
	v_fma_f16 v4, v21, 2.0, -v3
	s_delay_alu instid0(VALU_DEP_2) | instskip(SKIP_2) | instid1(VALU_DEP_3)
	v_fma_f16 v1, v1, 2.0, -v2
	v_pack_b32_f16 v2, v3, v2
	v_sub_f16_e32 v3, v22, v31
	v_pack_b32_f16 v1, v4, v1
	v_lshrrev_b32_e32 v4, 16, v22
	s_delay_alu instid0(VALU_DEP_3) | instskip(SKIP_4) | instid1(VALU_DEP_2)
	v_fma_f16 v5, v22, 2.0, -v3
	ds_store_b32 v196, v1 offset:8640
	ds_store_b32 v196, v2 offset:10080
	v_sub_f16_e32 v6, v4, v20
	v_sub_f16_e32 v2, v0, v30
	v_fma_f16 v4, v4, 2.0, -v6
	v_pack_b32_f16 v1, v3, v6
	v_lshrrev_b32_e32 v3, 16, v0
	s_delay_alu instid0(VALU_DEP_4) | instskip(NEXT) | instid1(VALU_DEP_4)
	v_fma_f16 v0, v0, 2.0, -v2
	v_pack_b32_f16 v4, v5, v4
	ds_store_b32 v194, v4 offset:8640
	ds_store_b32 v194, v1 offset:10080
	v_sub_f16_e32 v5, v3, v23
	s_delay_alu instid0(VALU_DEP_1) | instskip(SKIP_1) | instid1(VALU_DEP_2)
	v_fma_f16 v3, v3, 2.0, -v5
	v_pack_b32_f16 v1, v2, v5
	v_pack_b32_f16 v0, v0, v3
	ds_store_b32 v192, v0 offset:8640
	ds_store_b32 v192, v1 offset:10080
	s_waitcnt lgkmcnt(0)
	s_barrier
	buffer_gl0_inv
	ds_load_2addr_b32 v[0:1], v95 offset1:96
	s_waitcnt lgkmcnt(0)
	v_lshrrev_b32_e32 v2, 16, v0
	v_mul_f16_e64 v3, v145, v0
	s_delay_alu instid0(VALU_DEP_2) | instskip(NEXT) | instid1(VALU_DEP_2)
	v_mul_f16_e64 v4, v145, v2
	v_fma_f16 v3, v71, v2, -v3
	v_mul_f16_e32 v2, v77, v1
	s_delay_alu instid0(VALU_DEP_3) | instskip(SKIP_1) | instid1(VALU_DEP_1)
	v_fmac_f16_e32 v4, v71, v0
	v_lshrrev_b32_e32 v0, 16, v1
	v_mul_f16_e32 v21, v77, v0
	s_delay_alu instid0(VALU_DEP_4) | instskip(NEXT) | instid1(VALU_DEP_2)
	v_fma_f16 v22, v80, v0, -v2
	v_fmac_f16_e32 v21, v80, v1
	ds_load_2addr_b32 v[0:1], v124 offset0:64 offset1:160
	s_waitcnt lgkmcnt(0)
	v_lshrrev_b32_e32 v2, 16, v0
	v_mul_f16_e32 v5, v78, v0
	s_delay_alu instid0(VALU_DEP_2) | instskip(NEXT) | instid1(VALU_DEP_2)
	v_mul_f16_e32 v23, v78, v2
	v_fma_f16 v24, v73, v2, -v5
	v_mul_f16_e64 v2, v150, v1
	s_delay_alu instid0(VALU_DEP_3) | instskip(SKIP_1) | instid1(VALU_DEP_1)
	v_fmac_f16_e32 v23, v73, v0
	v_lshrrev_b32_e32 v0, 16, v1
	v_mul_f16_e64 v25, v150, v0
	s_delay_alu instid0(VALU_DEP_4) | instskip(NEXT) | instid1(VALU_DEP_2)
	v_fma_f16 v26, v172, v0, -v2
	v_fmac_f16_e64 v25, v172, v1
	ds_load_2addr_b32 v[0:1], v119 offset0:128 offset1:224
	s_waitcnt lgkmcnt(0)
	v_lshrrev_b32_e32 v2, 16, v0
	v_mul_f16_e32 v5, v91, v0
	s_delay_alu instid0(VALU_DEP_2) | instskip(NEXT) | instid1(VALU_DEP_2)
	v_mul_f16_e32 v27, v91, v2
	v_fma_f16 v28, v114, v2, -v5
	v_mul_f16_e32 v2, v92, v1
	s_delay_alu instid0(VALU_DEP_3) | instskip(SKIP_1) | instid1(VALU_DEP_1)
	v_fmac_f16_e32 v27, v114, v0
	v_lshrrev_b32_e32 v0, 16, v1
	v_mul_f16_e32 v29, v92, v0
	s_delay_alu instid0(VALU_DEP_4) | instskip(NEXT) | instid1(VALU_DEP_2)
	v_fma_f16 v30, v103, v0, -v2
	v_fmac_f16_e32 v29, v103, v1
	ds_load_2addr_b32 v[0:1], v123 offset0:64 offset1:160
	s_waitcnt lgkmcnt(0)
	v_lshrrev_b32_e32 v2, 16, v1
	v_mul_f16_e64 v5, v198, v1
	s_delay_alu instid0(VALU_DEP_2) | instskip(NEXT) | instid1(VALU_DEP_2)
	v_mul_f16_e64 v6, v198, v2
	v_fma_f16 v5, v238, v2, -v5
	s_delay_alu instid0(VALU_DEP_2)
	v_fmac_f16_e64 v6, v238, v1
	ds_load_2addr_b32 v[1:2], v125 offset1:96
	s_waitcnt lgkmcnt(0)
	v_sub_f16_e32 v31, v2, v4
	v_lshrrev_b32_e32 v4, 16, v1
	v_sub_f16_e32 v6, v1, v6
	v_lshrrev_b32_e32 v7, 16, v2
	s_delay_alu instid0(VALU_DEP_4) | instskip(NEXT) | instid1(VALU_DEP_4)
	v_fma_f16 v2, v2, 2.0, -v31
	v_sub_f16_e32 v5, v4, v5
	s_delay_alu instid0(VALU_DEP_4) | instskip(NEXT) | instid1(VALU_DEP_4)
	v_fma_f16 v1, v1, 2.0, -v6
	v_sub_f16_e32 v34, v7, v3
	s_delay_alu instid0(VALU_DEP_3) | instskip(SKIP_1) | instid1(VALU_DEP_3)
	v_fma_f16 v4, v4, 2.0, -v5
	v_pack_b32_f16 v33, v6, v5
	v_pack_b32_f16 v31, v31, v34
	s_delay_alu instid0(VALU_DEP_3) | instskip(SKIP_1) | instid1(VALU_DEP_1)
	v_pack_b32_f16 v32, v1, v4
	v_fma_f16 v1, v7, 2.0, -v34
	v_pack_b32_f16 v35, v2, v1
	ds_load_2addr_b32 v[1:2], v137 offset0:64 offset1:160
	ds_load_2addr_b32 v[3:4], v176 offset0:64 offset1:160
	ds_load_2addr_b32 v[5:6], v118 offset1:96
	ds_load_2addr_b32 v[7:8], v110 offset0:64 offset1:160
	ds_load_2addr_b32 v[9:10], v178 offset0:128 offset1:224
	ds_load_2addr_b32 v[11:12], v107 offset0:128 offset1:224
	ds_load_2addr_b32 v[13:14], v136 offset0:64 offset1:160
	ds_load_2addr_b32 v[15:16], v135 offset1:96
	ds_load_2addr_b32 v[17:18], v98 offset0:64 offset1:160
	ds_load_2addr_b32 v[19:20], v134 offset0:128 offset1:224
	s_waitcnt lgkmcnt(0)
	s_barrier
	buffer_gl0_inv
	ds_store_b32 v125, v33 offset:2880
	ds_store_2addr_b32 v125, v32, v35 offset1:96
	v_lshrrev_b32_e32 v32, 16, v1
	v_sub_f16_e32 v21, v1, v21
	v_sub_f16_e32 v23, v2, v23
	s_delay_alu instid0(VALU_DEP_3) | instskip(NEXT) | instid1(VALU_DEP_3)
	v_sub_f16_e32 v22, v32, v22
	v_fma_f16 v1, v1, 2.0, -v21
	s_delay_alu instid0(VALU_DEP_2)
	v_pack_b32_f16 v33, v21, v22
	v_fma_f16 v22, v32, 2.0, -v22
	v_lshrrev_b32_e32 v21, 16, v2
	v_fma_f16 v2, v2, 2.0, -v23
	ds_store_2addr_b32 v135, v31, v33 offset0:48 offset1:144
	v_pack_b32_f16 v1, v1, v22
	v_sub_f16_e32 v22, v21, v24
	s_delay_alu instid0(VALU_DEP_1) | instskip(NEXT) | instid1(VALU_DEP_1)
	v_fma_f16 v21, v21, 2.0, -v22
	v_pack_b32_f16 v2, v2, v21
	v_lshrrev_b32_e32 v21, 16, v11
	ds_store_2addr_b32 v137, v1, v2 offset0:64 offset1:160
	v_pack_b32_f16 v1, v23, v22
	v_sub_f16_e32 v2, v11, v25
	v_sub_f16_e32 v22, v21, v26
	s_delay_alu instid0(VALU_DEP_1)
	v_pack_b32_f16 v23, v2, v22
	v_fma_f16 v2, v11, 2.0, -v2
	v_lshrrev_b32_e32 v11, 16, v12
	ds_store_2addr_b32 v98, v1, v23 offset0:112 offset1:208
	v_fma_f16 v1, v21, 2.0, -v22
	v_sub_f16_e32 v21, v12, v27
	s_delay_alu instid0(VALU_DEP_2) | instskip(SKIP_1) | instid1(VALU_DEP_3)
	v_pack_b32_f16 v1, v2, v1
	v_sub_f16_e32 v2, v11, v28
	v_fma_f16 v12, v12, 2.0, -v21
	s_delay_alu instid0(VALU_DEP_2) | instskip(NEXT) | instid1(VALU_DEP_1)
	v_fma_f16 v11, v11, 2.0, -v2
	v_pack_b32_f16 v11, v12, v11
	v_sub_f16_e32 v12, v13, v29
	ds_store_2addr_b32 v107, v1, v11 offset0:128 offset1:224
	v_pack_b32_f16 v1, v21, v2
	v_lshrrev_b32_e32 v2, 16, v13
	v_fma_f16 v13, v13, 2.0, -v12
	s_delay_alu instid0(VALU_DEP_2) | instskip(NEXT) | instid1(VALU_DEP_1)
	v_sub_f16_e32 v11, v2, v30
	v_fma_f16 v2, v2, 2.0, -v11
	v_pack_b32_f16 v11, v12, v11
	v_mul_f16_e64 v12, v212, v4
	s_delay_alu instid0(VALU_DEP_3) | instskip(SKIP_4) | instid1(VALU_DEP_2)
	v_pack_b32_f16 v2, v13, v2
	ds_store_b32 v125, v2 offset:2304
	ds_store_2addr_b32 v36, v1, v11 offset0:48 offset1:144
	v_lshrrev_b32_e32 v1, 16, v3
	v_mul_f16_e64 v2, v213, v3
	v_mul_f16_e64 v11, v213, v1
	s_delay_alu instid0(VALU_DEP_2) | instskip(SKIP_1) | instid1(VALU_DEP_3)
	v_fma_f16 v1, v199, v1, -v2
	v_lshrrev_b32_e32 v2, 16, v4
	v_fmac_f16_e64 v11, v199, v3
	s_delay_alu instid0(VALU_DEP_2) | instskip(SKIP_1) | instid1(VALU_DEP_2)
	v_mul_f16_e64 v3, v212, v2
	v_fma_f16 v2, v191, v2, -v12
	v_fmac_f16_e64 v3, v191, v4
	s_delay_alu instid0(VALU_DEP_4) | instskip(SKIP_1) | instid1(VALU_DEP_3)
	v_sub_f16_e32 v4, v14, v11
	v_lshrrev_b32_e32 v11, 16, v14
	v_sub_f16_e32 v3, v15, v3
	s_delay_alu instid0(VALU_DEP_3) | instskip(NEXT) | instid1(VALU_DEP_3)
	v_fma_f16 v12, v14, 2.0, -v4
	v_sub_f16_e32 v1, v11, v1
	v_mul_f16_e64 v14, v221, v8
	s_delay_alu instid0(VALU_DEP_2) | instskip(SKIP_2) | instid1(VALU_DEP_3)
	v_fma_f16 v11, v11, 2.0, -v1
	v_pack_b32_f16 v1, v4, v1
	v_mul_f16_e64 v4, v209, v5
	v_pack_b32_f16 v11, v12, v11
	ds_store_b32 v204, v11
	ds_store_b32 v204, v1 offset:2880
	v_lshrrev_b32_e32 v1, 16, v5
	v_fma_f16 v12, v15, 2.0, -v3
	s_delay_alu instid0(VALU_DEP_2) | instskip(SKIP_1) | instid1(VALU_DEP_2)
	v_mul_f16_e64 v11, v209, v1
	v_fma_f16 v1, v186, v1, -v4
	v_fmac_f16_e64 v11, v186, v5
	v_lshrrev_b32_e32 v5, 16, v15
	s_delay_alu instid0(VALU_DEP_2) | instskip(SKIP_1) | instid1(VALU_DEP_3)
	v_sub_f16_e32 v4, v16, v11
	v_lshrrev_b32_e32 v11, 16, v16
	v_sub_f16_e32 v2, v5, v2
	s_delay_alu instid0(VALU_DEP_3) | instskip(NEXT) | instid1(VALU_DEP_3)
	v_fma_f16 v13, v16, 2.0, -v4
	v_sub_f16_e32 v1, v11, v1
	s_delay_alu instid0(VALU_DEP_3) | instskip(SKIP_2) | instid1(VALU_DEP_4)
	v_fma_f16 v5, v5, 2.0, -v2
	v_mul_f16_e64 v16, v229, v10
	v_pack_b32_f16 v2, v3, v2
	v_fma_f16 v11, v11, 2.0, -v1
	s_delay_alu instid0(VALU_DEP_4) | instskip(SKIP_2) | instid1(VALU_DEP_4)
	v_pack_b32_f16 v5, v12, v5
	v_add_nc_u32_e32 v12, 0x1600, v125
	v_pack_b32_f16 v1, v4, v1
	v_pack_b32_f16 v11, v13, v11
	ds_store_2addr_b32 v12, v5, v11 offset0:80 offset1:176
	v_lshrrev_b32_e32 v5, 16, v6
	v_mul_f16_e64 v12, v210, v6
	s_delay_alu instid0(VALU_DEP_2) | instskip(NEXT) | instid1(VALU_DEP_2)
	v_mul_f16_e64 v11, v210, v5
	v_fma_f16 v5, v183, v5, -v12
	v_mul_f16_e64 v12, v216, v7
	s_delay_alu instid0(VALU_DEP_3) | instskip(SKIP_1) | instid1(VALU_DEP_2)
	v_fmac_f16_e64 v11, v183, v6
	v_lshrrev_b32_e32 v6, 16, v7
	v_sub_f16_e32 v4, v17, v11
	s_delay_alu instid0(VALU_DEP_2) | instskip(SKIP_1) | instid1(VALU_DEP_2)
	v_mul_f16_e64 v13, v216, v6
	v_fma_f16 v6, v182, v6, -v12
	v_fmac_f16_e64 v13, v182, v7
	v_lshrrev_b32_e32 v7, 16, v8
	s_delay_alu instid0(VALU_DEP_1) | instskip(SKIP_2) | instid1(VALU_DEP_3)
	v_mul_f16_e64 v12, v221, v7
	v_fma_f16 v7, v189, v7, -v14
	v_mul_f16_e64 v14, v225, v9
	v_fmac_f16_e64 v12, v189, v8
	v_lshrrev_b32_e32 v8, 16, v9
	s_delay_alu instid0(VALU_DEP_1) | instskip(NEXT) | instid1(VALU_DEP_4)
	v_mul_f16_e64 v15, v225, v8
	v_fma_f16 v8, v188, v8, -v14
	s_delay_alu instid0(VALU_DEP_2) | instskip(SKIP_1) | instid1(VALU_DEP_1)
	v_fmac_f16_e64 v15, v188, v9
	v_lshrrev_b32_e32 v9, 16, v10
	v_mul_f16_e64 v14, v229, v9
	v_fma_f16 v9, v185, v9, -v16
	s_delay_alu instid0(VALU_DEP_2) | instskip(SKIP_1) | instid1(VALU_DEP_1)
	v_fmac_f16_e64 v14, v185, v10
	v_lshrrev_b32_e32 v10, 16, v17
	v_sub_f16_e32 v5, v10, v5
	s_delay_alu instid0(VALU_DEP_1)
	v_pack_b32_f16 v11, v4, v5
	v_fma_f16 v4, v17, 2.0, -v4
	ds_store_2addr_b32 v118, v1, v11 offset1:96
	v_fma_f16 v1, v10, 2.0, -v5
	v_lshrrev_b32_e32 v10, 16, v18
	v_sub_f16_e32 v5, v18, v13
	s_delay_alu instid0(VALU_DEP_3) | instskip(NEXT) | instid1(VALU_DEP_3)
	v_pack_b32_f16 v1, v4, v1
	v_sub_f16_e32 v4, v10, v6
	s_delay_alu instid0(VALU_DEP_3) | instskip(NEXT) | instid1(VALU_DEP_2)
	v_fma_f16 v11, v18, 2.0, -v5
	v_fma_f16 v6, v10, 2.0, -v4
	s_delay_alu instid0(VALU_DEP_1) | instskip(SKIP_4) | instid1(VALU_DEP_2)
	v_pack_b32_f16 v6, v11, v6
	ds_store_2addr_b32 v95, v1, v6 offset0:144 offset1:240
	v_pack_b32_f16 v1, v5, v4
	v_lshrrev_b32_e32 v5, 16, v19
	v_sub_f16_e32 v4, v19, v12
	v_sub_f16_e32 v6, v5, v7
	s_delay_alu instid0(VALU_DEP_1)
	v_pack_b32_f16 v7, v4, v6
	v_fma_f16 v4, v19, 2.0, -v4
	ds_store_2addr_b32 v110, v1, v7 offset0:64 offset1:160
	v_fma_f16 v1, v5, 2.0, -v6
	v_lshrrev_b32_e32 v6, 16, v20
	v_sub_f16_e32 v5, v20, v15
	s_delay_alu instid0(VALU_DEP_3) | instskip(NEXT) | instid1(VALU_DEP_3)
	v_pack_b32_f16 v1, v4, v1
	v_sub_f16_e32 v4, v6, v8
	s_delay_alu instid0(VALU_DEP_3) | instskip(NEXT) | instid1(VALU_DEP_2)
	v_fma_f16 v7, v20, 2.0, -v5
	v_fma_f16 v6, v6, 2.0, -v4
	s_delay_alu instid0(VALU_DEP_1) | instskip(SKIP_3) | instid1(VALU_DEP_2)
	v_pack_b32_f16 v6, v7, v6
	ds_store_2addr_b32 v119, v1, v6 offset0:80 offset1:176
	v_lshrrev_b32_e32 v6, 16, v0
	v_sub_f16_e32 v1, v0, v14
	v_sub_f16_e32 v3, v6, v9
	s_delay_alu instid0(VALU_DEP_2) | instskip(NEXT) | instid1(VALU_DEP_2)
	v_fma_f16 v0, v0, 2.0, -v1
	v_fma_f16 v6, v6, 2.0, -v3
	v_pack_b32_f16 v1, v1, v3
	s_delay_alu instid0(VALU_DEP_2)
	v_pack_b32_f16 v0, v0, v6
	ds_store_2addr_b32 v176, v0, v2 offset0:16 offset1:160
	v_pack_b32_f16 v0, v5, v4
	ds_store_2addr_b32 v178, v0, v1 offset0:128 offset1:224
	s_waitcnt lgkmcnt(0)
	s_barrier
	buffer_gl0_inv
	ds_load_2addr_b32 v[0:1], v95 offset1:96
	s_waitcnt lgkmcnt(0)
	v_lshrrev_b32_e32 v2, 16, v0
	v_mul_f16_e32 v3, v89, v0
	s_delay_alu instid0(VALU_DEP_2) | instskip(NEXT) | instid1(VALU_DEP_2)
	v_mul_f16_e32 v4, v89, v2
	v_fma_f16 v3, v223, v2, -v3
	v_mul_f16_e32 v2, v70, v1
	s_delay_alu instid0(VALU_DEP_3) | instskip(SKIP_1) | instid1(VALU_DEP_1)
	v_fmac_f16_e64 v4, v223, v0
	v_lshrrev_b32_e32 v0, 16, v1
	v_mul_f16_e32 v13, v70, v0
	s_delay_alu instid0(VALU_DEP_4) | instskip(NEXT) | instid1(VALU_DEP_2)
	v_fma_f16 v14, v127, v0, -v2
	v_fmac_f16_e32 v13, v127, v1
	ds_load_2addr_b32 v[0:1], v124 offset0:64 offset1:160
	s_waitcnt lgkmcnt(0)
	v_lshrrev_b32_e32 v2, 16, v0
	v_mul_f16_e32 v5, v88, v0
	s_delay_alu instid0(VALU_DEP_2) | instskip(NEXT) | instid1(VALU_DEP_2)
	v_mul_f16_e32 v15, v88, v2
	v_fma_f16 v16, v65, v2, -v5
	v_mul_f16_e64 v2, v156, v1
	s_delay_alu instid0(VALU_DEP_3) | instskip(SKIP_1) | instid1(VALU_DEP_1)
	v_fmac_f16_e32 v15, v65, v0
	v_lshrrev_b32_e32 v0, 16, v1
	v_mul_f16_e64 v17, v156, v0
	s_delay_alu instid0(VALU_DEP_4) | instskip(NEXT) | instid1(VALU_DEP_2)
	v_fma_f16 v18, v75, v0, -v2
	v_fmac_f16_e32 v17, v75, v1
	ds_load_2addr_b32 v[0:1], v119 offset0:128 offset1:224
	s_waitcnt lgkmcnt(0)
	v_lshrrev_b32_e32 v2, 16, v0
	v_mul_f16_e64 v5, v155, v0
	s_delay_alu instid0(VALU_DEP_2) | instskip(NEXT) | instid1(VALU_DEP_2)
	v_mul_f16_e64 v19, v155, v2
	v_fma_f16 v20, v105, v2, -v5
	v_mul_f16_e64 v2, v159, v1
	s_delay_alu instid0(VALU_DEP_3) | instskip(SKIP_1) | instid1(VALU_DEP_1)
	v_fmac_f16_e32 v19, v105, v0
	v_lshrrev_b32_e32 v0, 16, v1
	v_mul_f16_e64 v21, v159, v0
	s_delay_alu instid0(VALU_DEP_4) | instskip(NEXT) | instid1(VALU_DEP_2)
	v_fma_f16 v22, v174, v0, -v2
	v_fmac_f16_e64 v21, v174, v1
	ds_load_2addr_b32 v[0:1], v176 offset0:64 offset1:160
	s_waitcnt lgkmcnt(0)
	v_lshrrev_b32_e32 v2, 16, v0
	v_mul_f16_e64 v5, v157, v0
	s_delay_alu instid0(VALU_DEP_2) | instskip(NEXT) | instid1(VALU_DEP_2)
	v_mul_f16_e64 v23, v157, v2
	v_fma_f16 v24, v79, v2, -v5
	v_mul_f16_e32 v2, v111, v1
	s_delay_alu instid0(VALU_DEP_3) | instskip(SKIP_1) | instid1(VALU_DEP_1)
	v_fmac_f16_e32 v23, v79, v0
	v_lshrrev_b32_e32 v0, 16, v1
	v_mul_f16_e32 v25, v111, v0
	s_delay_alu instid0(VALU_DEP_4) | instskip(NEXT) | instid1(VALU_DEP_2)
	v_fma_f16 v26, v158, v0, -v2
	v_fmac_f16_e64 v25, v158, v1
	ds_load_2addr_b32 v[0:1], v118 offset1:96
	s_waitcnt lgkmcnt(0)
	v_lshrrev_b32_e32 v2, 16, v0
	v_mul_f16_e32 v5, v112, v0
	s_delay_alu instid0(VALU_DEP_2) | instskip(NEXT) | instid1(VALU_DEP_2)
	v_mul_f16_e32 v27, v112, v2
	v_fma_f16 v28, v160, v2, -v5
	v_mul_f16_e32 v2, v115, v1
	s_delay_alu instid0(VALU_DEP_3) | instskip(SKIP_1) | instid1(VALU_DEP_1)
	v_fmac_f16_e64 v27, v160, v0
	v_lshrrev_b32_e32 v0, 16, v1
	v_mul_f16_e32 v29, v115, v0
	s_delay_alu instid0(VALU_DEP_4) | instskip(NEXT) | instid1(VALU_DEP_2)
	v_fma_f16 v30, v96, v0, -v2
	v_fmac_f16_e32 v29, v96, v1
	ds_load_2addr_b32 v[0:1], v110 offset0:64 offset1:160
	s_waitcnt lgkmcnt(0)
	v_lshrrev_b32_e32 v2, 16, v0
	v_mul_f16_e32 v5, v116, v0
	s_delay_alu instid0(VALU_DEP_2) | instskip(NEXT) | instid1(VALU_DEP_2)
	v_mul_f16_e32 v31, v116, v2
	v_fma_f16 v32, v99, v2, -v5
	v_mul_f16_e32 v2, v67, v1
	s_delay_alu instid0(VALU_DEP_3) | instskip(SKIP_1) | instid1(VALU_DEP_1)
	v_fmac_f16_e32 v31, v99, v0
	v_lshrrev_b32_e32 v0, 16, v1
	v_mul_f16_e32 v33, v67, v0
	s_delay_alu instid0(VALU_DEP_4) | instskip(NEXT) | instid1(VALU_DEP_2)
	v_fma_f16 v34, v100, v0, -v2
	v_fmac_f16_e32 v33, v100, v1
	ds_load_2addr_b32 v[0:1], v178 offset0:128 offset1:224
	s_waitcnt lgkmcnt(0)
	v_lshrrev_b32_e32 v2, 16, v0
	v_mul_f16_e32 v5, v68, v0
	s_delay_alu instid0(VALU_DEP_2) | instskip(NEXT) | instid1(VALU_DEP_2)
	v_mul_f16_e32 v35, v68, v2
	v_fma_f16 v36, v101, v2, -v5
	v_mul_f16_e32 v2, v66, v1
	s_delay_alu instid0(VALU_DEP_3) | instskip(SKIP_1) | instid1(VALU_DEP_1)
	v_fmac_f16_e32 v35, v101, v0
	v_lshrrev_b32_e32 v0, 16, v1
	v_mul_f16_e32 v37, v66, v0
	s_delay_alu instid0(VALU_DEP_4) | instskip(NEXT) | instid1(VALU_DEP_2)
	v_fma_f16 v38, v108, v0, -v2
	v_fmac_f16_e32 v37, v108, v1
	ds_load_2addr_b32 v[0:1], v123 offset0:64 offset1:160
	s_waitcnt lgkmcnt(0)
	v_lshrrev_b32_e32 v2, 16, v1
	v_mul_f16_e64 v5, v139, v1
	s_delay_alu instid0(VALU_DEP_2) | instskip(NEXT) | instid1(VALU_DEP_2)
	v_mul_f16_e64 v6, v139, v2
	v_fma_f16 v5, v181, v2, -v5
	s_delay_alu instid0(VALU_DEP_2)
	v_fmac_f16_e64 v6, v181, v1
	ds_load_2addr_b32 v[1:2], v125 offset1:96
	s_waitcnt lgkmcnt(0)
	v_sub_f16_e32 v39, v2, v4
	v_lshrrev_b32_e32 v4, 16, v1
	v_sub_f16_e32 v6, v1, v6
	v_lshrrev_b32_e32 v7, 16, v2
	s_delay_alu instid0(VALU_DEP_4) | instskip(NEXT) | instid1(VALU_DEP_4)
	v_fma_f16 v2, v2, 2.0, -v39
	v_sub_f16_e32 v5, v4, v5
	s_delay_alu instid0(VALU_DEP_4) | instskip(NEXT) | instid1(VALU_DEP_4)
	v_fma_f16 v1, v1, 2.0, -v6
	v_sub_f16_e32 v41, v7, v3
	s_delay_alu instid0(VALU_DEP_3) | instskip(NEXT) | instid1(VALU_DEP_2)
	v_fma_f16 v4, v4, 2.0, -v5
	v_fma_f16 v3, v7, 2.0, -v41
	v_pack_b32_f16 v39, v39, v41
	s_delay_alu instid0(VALU_DEP_3) | instskip(SKIP_1) | instid1(VALU_DEP_4)
	v_pack_b32_f16 v40, v1, v4
	v_pack_b32_f16 v1, v6, v5
	;; [unrolled: 1-line block ×3, first 2 shown]
	ds_store_b32 v125, v1 offset:5760
	ds_load_2addr_b32 v[1:2], v137 offset0:64 offset1:160
	ds_load_2addr_b32 v[3:4], v107 offset0:128 offset1:224
	;; [unrolled: 1-line block ×3, first 2 shown]
	ds_load_2addr_b32 v[7:8], v135 offset1:96
	ds_load_2addr_b32 v[9:10], v98 offset0:64 offset1:160
	ds_load_2addr_b32 v[11:12], v134 offset0:128 offset1:224
	ds_store_2addr_b32 v125, v40, v42 offset1:96
	s_waitcnt lgkmcnt(6)
	v_lshrrev_b32_e32 v40, 16, v1
	v_sub_f16_e32 v13, v1, v13
	v_sub_f16_e32 v15, v2, v15
	s_delay_alu instid0(VALU_DEP_3) | instskip(NEXT) | instid1(VALU_DEP_3)
	v_sub_f16_e32 v14, v40, v14
	v_fma_f16 v1, v1, 2.0, -v13
	s_delay_alu instid0(VALU_DEP_2)
	v_pack_b32_f16 v41, v13, v14
	v_fma_f16 v14, v40, 2.0, -v14
	v_lshrrev_b32_e32 v13, 16, v2
	v_fma_f16 v2, v2, 2.0, -v15
	ds_store_2addr_b32 v95, v39, v41 offset1:96
	v_pack_b32_f16 v1, v1, v14
	v_sub_f16_e32 v14, v13, v16
	s_delay_alu instid0(VALU_DEP_1) | instskip(NEXT) | instid1(VALU_DEP_1)
	v_fma_f16 v13, v13, 2.0, -v14
	v_pack_b32_f16 v2, v2, v13
	s_waitcnt lgkmcnt(6)
	v_lshrrev_b32_e32 v13, 16, v3
	ds_store_2addr_b32 v137, v1, v2 offset0:64 offset1:160
	v_pack_b32_f16 v1, v15, v14
	v_sub_f16_e32 v2, v3, v17
	v_sub_f16_e32 v14, v13, v18
	s_delay_alu instid0(VALU_DEP_1)
	v_pack_b32_f16 v15, v2, v14
	v_fma_f16 v2, v3, 2.0, -v2
	v_lshrrev_b32_e32 v3, 16, v4
	ds_store_2addr_b32 v124, v1, v15 offset0:64 offset1:160
	v_fma_f16 v1, v13, 2.0, -v14
	v_sub_f16_e32 v13, v4, v19
	s_delay_alu instid0(VALU_DEP_2) | instskip(SKIP_1) | instid1(VALU_DEP_3)
	v_pack_b32_f16 v1, v2, v1
	v_sub_f16_e32 v2, v3, v20
	v_fma_f16 v4, v4, 2.0, -v13
	s_delay_alu instid0(VALU_DEP_2) | instskip(NEXT) | instid1(VALU_DEP_1)
	v_fma_f16 v3, v3, 2.0, -v2
	v_pack_b32_f16 v3, v4, v3
	ds_store_2addr_b32 v107, v1, v3 offset0:128 offset1:224
	s_waitcnt lgkmcnt(8)
	v_lshrrev_b32_e32 v3, 16, v5
	v_pack_b32_f16 v1, v13, v2
	v_sub_f16_e32 v2, v5, v21
	s_delay_alu instid0(VALU_DEP_3) | instskip(NEXT) | instid1(VALU_DEP_1)
	v_sub_f16_e32 v4, v3, v22
	v_pack_b32_f16 v13, v2, v4
	v_fma_f16 v2, v5, 2.0, -v2
	ds_store_2addr_b32 v119, v1, v13 offset0:128 offset1:224
	v_fma_f16 v1, v3, 2.0, -v4
	v_lshrrev_b32_e32 v4, 16, v6
	v_sub_f16_e32 v3, v6, v23
	s_delay_alu instid0(VALU_DEP_3) | instskip(NEXT) | instid1(VALU_DEP_3)
	v_pack_b32_f16 v1, v2, v1
	v_sub_f16_e32 v2, v4, v24
	s_delay_alu instid0(VALU_DEP_3) | instskip(SKIP_1) | instid1(VALU_DEP_3)
	v_fma_f16 v5, v6, 2.0, -v3
	v_lshrrev_b32_e32 v6, 16, v0
	v_fma_f16 v4, v4, 2.0, -v2
	s_delay_alu instid0(VALU_DEP_1)
	v_pack_b32_f16 v4, v5, v4
	ds_store_2addr_b32 v136, v1, v4 offset0:64 offset1:160
	v_pack_b32_f16 v1, v3, v2
	s_waitcnt lgkmcnt(9)
	v_lshrrev_b32_e32 v3, 16, v7
	v_sub_f16_e32 v2, v7, v25
	s_delay_alu instid0(VALU_DEP_2) | instskip(NEXT) | instid1(VALU_DEP_1)
	v_sub_f16_e32 v4, v3, v26
	v_pack_b32_f16 v5, v2, v4
	v_fma_f16 v2, v7, 2.0, -v2
	ds_store_2addr_b32 v176, v1, v5 offset0:64 offset1:160
	v_fma_f16 v1, v3, 2.0, -v4
	v_lshrrev_b32_e32 v4, 16, v8
	v_sub_f16_e32 v3, v8, v27
	s_delay_alu instid0(VALU_DEP_3) | instskip(NEXT) | instid1(VALU_DEP_3)
	v_pack_b32_f16 v1, v2, v1
	v_sub_f16_e32 v2, v4, v28
	s_delay_alu instid0(VALU_DEP_3) | instskip(NEXT) | instid1(VALU_DEP_2)
	v_fma_f16 v5, v8, 2.0, -v3
	v_fma_f16 v4, v4, 2.0, -v2
	s_delay_alu instid0(VALU_DEP_1)
	v_pack_b32_f16 v4, v5, v4
	ds_store_2addr_b32 v135, v1, v4 offset1:96
	v_pack_b32_f16 v1, v3, v2
	s_waitcnt lgkmcnt(10)
	v_lshrrev_b32_e32 v3, 16, v9
	v_sub_f16_e32 v2, v9, v29
	s_delay_alu instid0(VALU_DEP_2) | instskip(SKIP_1) | instid1(VALU_DEP_2)
	v_sub_f16_e32 v4, v3, v30
	v_lshrrev_b32_e32 v30, 16, v184
	v_pack_b32_f16 v5, v2, v4
	v_fma_f16 v2, v9, 2.0, -v2
	ds_store_2addr_b32 v118, v1, v5 offset1:96
	v_fma_f16 v1, v3, 2.0, -v4
	v_lshrrev_b32_e32 v4, 16, v10
	v_sub_f16_e32 v3, v10, v31
	s_delay_alu instid0(VALU_DEP_3) | instskip(NEXT) | instid1(VALU_DEP_3)
	v_pack_b32_f16 v1, v2, v1
	v_sub_f16_e32 v2, v4, v32
	s_delay_alu instid0(VALU_DEP_3) | instskip(NEXT) | instid1(VALU_DEP_2)
	v_fma_f16 v5, v10, 2.0, -v3
	v_fma_f16 v4, v4, 2.0, -v2
	s_delay_alu instid0(VALU_DEP_1)
	v_pack_b32_f16 v4, v5, v4
	ds_store_2addr_b32 v98, v1, v4 offset0:64 offset1:160
	v_pack_b32_f16 v1, v3, v2
	s_waitcnt lgkmcnt(11)
	v_lshrrev_b32_e32 v3, 16, v11
	v_sub_f16_e32 v2, v11, v33
	s_delay_alu instid0(VALU_DEP_2) | instskip(SKIP_1) | instid1(VALU_DEP_2)
	v_sub_f16_e32 v4, v3, v34
	v_lshrrev_b32_e32 v34, 16, v187
	v_pack_b32_f16 v5, v2, v4
	v_fma_f16 v2, v11, 2.0, -v2
	ds_store_2addr_b32 v110, v1, v5 offset0:64 offset1:160
	v_fma_f16 v1, v3, 2.0, -v4
	v_lshrrev_b32_e32 v4, 16, v12
	v_sub_f16_e32 v3, v12, v35
	s_delay_alu instid0(VALU_DEP_3) | instskip(NEXT) | instid1(VALU_DEP_3)
	v_pack_b32_f16 v1, v2, v1
	v_sub_f16_e32 v2, v4, v36
	s_delay_alu instid0(VALU_DEP_3) | instskip(NEXT) | instid1(VALU_DEP_2)
	v_fma_f16 v5, v12, 2.0, -v3
	v_fma_f16 v4, v4, 2.0, -v2
	s_delay_alu instid0(VALU_DEP_1) | instskip(SKIP_2) | instid1(VALU_DEP_1)
	v_pack_b32_f16 v4, v5, v4
	ds_store_2addr_b32 v134, v1, v4 offset0:128 offset1:224
	v_sub_f16_e32 v1, v0, v37
	v_fma_f16 v7, v0, 2.0, -v1
	v_pack_b32_f16 v0, v3, v2
	scratch_load_b64 v[3:4], off, off offset:216 ; 8-byte Folded Reload
	v_sub_f16_e32 v2, v6, v38
	s_delay_alu instid0(VALU_DEP_1) | instskip(SKIP_3) | instid1(VALU_DEP_1)
	v_pack_b32_f16 v1, v1, v2
	ds_store_2addr_b32 v178, v0, v1 offset0:128 offset1:224
	s_waitcnt vmcnt(0)
	v_mad_u64_u32 v[0:1], null, s10, v3, 0
	v_mad_u64_u32 v[4:5], null, s11, v3, v[1:2]
	v_fma_f16 v1, v6, 2.0, -v2
	s_mov_b32 s10, 0x16c16c17
	s_mov_b32 s11, 0x3f36c16c
	s_delay_alu instid0(VALU_DEP_1)
	v_pack_b32_f16 v1, v7, v1
	ds_store_b32 v125, v1 offset:5376
	s_waitcnt lgkmcnt(0)
	s_barrier
	buffer_gl0_inv
	s_clause 0x5
	scratch_load_b32 v28, off, off offset:248
	scratch_load_b32 v24, off, off offset:244
	;; [unrolled: 1-line block ×6, first 2 shown]
	ds_load_2addr_b32 v[10:11], v125 offset1:96
	s_waitcnt lgkmcnt(0)
	v_lshrrev_b32_e32 v9, 16, v10
	s_waitcnt vmcnt(5)
	v_mul_f16_e32 v1, v28, v10
	s_waitcnt vmcnt(4)
	s_delay_alu instid0(VALU_DEP_1) | instskip(NEXT) | instid1(VALU_DEP_1)
	v_fma_f16 v1, v24, v9, -v1
	v_cvt_f32_f16_e32 v1, v1
	s_delay_alu instid0(VALU_DEP_1) | instskip(NEXT) | instid1(VALU_DEP_1)
	v_cvt_f64_f32_e32 v[1:2], v1
	v_mul_f64 v[1:2], v[1:2], s[10:11]
	s_delay_alu instid0(VALU_DEP_1) | instskip(SKIP_3) | instid1(VALU_DEP_4)
	v_and_or_b32 v1, 0x1ff, v2, v1
	v_lshrrev_b32_e32 v3, 8, v2
	v_bfe_u32 v14, v2, 20, 11
	v_lshrrev_b32_e32 v2, 16, v2
	v_cmp_ne_u32_e32 vcc_lo, 0, v1
	v_cndmask_b32_e64 v1, 0, 1, vcc_lo
	s_delay_alu instid0(VALU_DEP_1) | instskip(SKIP_1) | instid1(VALU_DEP_2)
	v_and_or_b32 v3, 0xffe, v3, v1
	v_sub_nc_u32_e32 v1, 0x3f1, v14
	v_or_b32_e32 v5, 0x1000, v3
	s_delay_alu instid0(VALU_DEP_2) | instskip(NEXT) | instid1(VALU_DEP_1)
	v_med3_i32 v1, v1, 0, 13
	v_lshrrev_b32_e32 v15, v1, v5
	s_delay_alu instid0(VALU_DEP_1) | instskip(NEXT) | instid1(VALU_DEP_1)
	v_lshlrev_b32_e32 v1, v1, v15
	v_cmp_ne_u32_e64 s2, v1, v5
	v_mov_b32_e32 v1, v4
	v_mad_u64_u32 v[4:5], null, s8, v120, 0
	s_delay_alu instid0(VALU_DEP_2) | instskip(NEXT) | instid1(VALU_DEP_2)
	v_lshlrev_b64 v[0:1], 2, v[0:1]
	v_mad_u64_u32 v[6:7], null, s9, v120, v[5:6]
	s_delay_alu instid0(VALU_DEP_2) | instskip(NEXT) | instid1(VALU_DEP_3)
	v_add_co_u32 v20, vcc_lo, s0, v0
	v_add_co_ci_u32_e32 v19, vcc_lo, s1, v1, vcc_lo
	s_delay_alu instid0(VALU_DEP_3) | instskip(NEXT) | instid1(VALU_DEP_1)
	v_mov_b32_e32 v5, v6
	v_lshlrev_b64 v[0:1], 2, v[4:5]
	s_delay_alu instid0(VALU_DEP_1) | instskip(NEXT) | instid1(VALU_DEP_2)
	v_add_co_u32 v12, vcc_lo, v20, v0
	v_add_co_ci_u32_e32 v13, vcc_lo, v19, v1, vcc_lo
	ds_load_2addr_b32 v[0:1], v137 offset0:64 offset1:160
	s_waitcnt lgkmcnt(0)
	v_lshrrev_b32_e32 v27, 16, v1
	v_mul_f16_e32 v4, v34, v1
	s_delay_alu instid0(VALU_DEP_1) | instskip(SKIP_1) | instid1(VALU_DEP_2)
	v_fma_f16 v4, v187, v27, -v4
	v_mul_f16_e32 v27, v34, v27
	v_cvt_f32_f16_e32 v4, v4
	s_delay_alu instid0(VALU_DEP_2) | instskip(NEXT) | instid1(VALU_DEP_2)
	v_fmac_f16_e64 v27, v187, v1
	v_cvt_f64_f32_e32 v[4:5], v4
	s_delay_alu instid0(VALU_DEP_2) | instskip(NEXT) | instid1(VALU_DEP_2)
	v_cvt_f32_f16_e32 v1, v27
	v_mul_f64 v[7:8], v[4:5], s[10:11]
	s_delay_alu instid0(VALU_DEP_1)
	v_and_or_b32 v4, 0x1ff, v8, v7
	v_lshrrev_b32_e32 v5, 8, v8
	v_bfe_u32 v25, v8, 20, 11
	ds_load_2addr_b32 v[6:7], v136 offset0:64 offset1:160
	v_lshrrev_b32_e32 v8, 16, v8
	v_cmp_ne_u32_e32 vcc_lo, 0, v4
	v_cndmask_b32_e64 v4, 0, 1, vcc_lo
	s_delay_alu instid0(VALU_DEP_1) | instskip(SKIP_1) | instid1(VALU_DEP_2)
	v_and_or_b32 v23, 0xffe, v5, v4
	v_sub_nc_u32_e32 v4, 0x3f1, v25
	v_or_b32_e32 v5, 0x1000, v23
	s_delay_alu instid0(VALU_DEP_2) | instskip(SKIP_2) | instid1(VALU_DEP_2)
	v_med3_i32 v4, v4, 0, 13
	s_waitcnt lgkmcnt(0)
	v_lshrrev_b32_e32 v16, 16, v6
	v_lshrrev_b32_e32 v26, v4, v5
	s_delay_alu instid0(VALU_DEP_1) | instskip(NEXT) | instid1(VALU_DEP_1)
	v_lshlrev_b32_e32 v4, v4, v26
	v_cmp_ne_u32_e64 s0, v4, v5
	s_waitcnt vmcnt(3)
	v_mul_f16_e32 v4, v39, v6
	s_waitcnt vmcnt(2)
	s_delay_alu instid0(VALU_DEP_1) | instskip(NEXT) | instid1(VALU_DEP_1)
	v_fma_f16 v4, v38, v16, -v4
	v_cvt_f32_f16_e32 v4, v4
	s_delay_alu instid0(VALU_DEP_1) | instskip(NEXT) | instid1(VALU_DEP_1)
	v_cvt_f64_f32_e32 v[4:5], v4
	v_mul_f64 v[4:5], v[4:5], s[10:11]
	s_delay_alu instid0(VALU_DEP_1) | instskip(SKIP_3) | instid1(VALU_DEP_4)
	v_and_or_b32 v4, 0x1ff, v5, v4
	v_lshrrev_b32_e32 v17, 8, v5
	v_bfe_u32 v18, v5, 20, 11
	v_lshrrev_b32_e32 v5, 16, v5
	v_cmp_ne_u32_e32 vcc_lo, 0, v4
	v_cndmask_b32_e64 v4, 0, 1, vcc_lo
	s_delay_alu instid0(VALU_DEP_1) | instskip(SKIP_1) | instid1(VALU_DEP_2)
	v_and_or_b32 v17, 0xffe, v17, v4
	v_sub_nc_u32_e32 v4, 0x3f1, v18
	v_or_b32_e32 v22, 0x1000, v17
	s_delay_alu instid0(VALU_DEP_2) | instskip(NEXT) | instid1(VALU_DEP_1)
	v_med3_i32 v4, v4, 0, 13
	v_lshrrev_b32_e32 v21, v4, v22
	s_delay_alu instid0(VALU_DEP_1) | instskip(NEXT) | instid1(VALU_DEP_1)
	v_lshlrev_b32_e32 v4, v4, v21
	v_cmp_ne_u32_e32 vcc_lo, v4, v22
	v_mul_f16_e32 v4, v28, v9
	s_delay_alu instid0(VALU_DEP_1) | instskip(NEXT) | instid1(VALU_DEP_1)
	v_fmac_f16_e32 v4, v24, v10
	v_cvt_f32_f16_e32 v4, v4
	s_delay_alu instid0(VALU_DEP_1) | instskip(NEXT) | instid1(VALU_DEP_1)
	v_cvt_f64_f32_e32 v[9:10], v4
	v_mul_f64 v[9:10], v[9:10], s[10:11]
	s_delay_alu instid0(VALU_DEP_1) | instskip(SKIP_1) | instid1(VALU_DEP_2)
	v_and_or_b32 v4, 0x1ff, v10, v9
	v_lshrrev_b32_e32 v9, 8, v10
	v_cmp_ne_u32_e64 s1, 0, v4
	s_delay_alu instid0(VALU_DEP_1) | instskip(NEXT) | instid1(VALU_DEP_1)
	v_cndmask_b32_e64 v4, 0, 1, s1
	v_and_or_b32 v4, 0xffe, v9, v4
	v_bfe_u32 v9, v10, 20, 11
	v_lshrrev_b32_e32 v10, 16, v10
	s_delay_alu instid0(VALU_DEP_3) | instskip(NEXT) | instid1(VALU_DEP_3)
	v_or_b32_e32 v24, 0x1000, v4
	v_sub_nc_u32_e32 v22, 0x3f1, v9
	v_add_nc_u32_e32 v9, 0xfffffc10, v9
	s_delay_alu instid0(VALU_DEP_2) | instskip(NEXT) | instid1(VALU_DEP_1)
	v_med3_i32 v22, v22, 0, 13
	v_lshrrev_b32_e32 v28, v22, v24
	s_delay_alu instid0(VALU_DEP_1) | instskip(NEXT) | instid1(VALU_DEP_1)
	v_lshlrev_b32_e32 v22, v22, v28
	v_cmp_ne_u32_e64 s1, v22, v24
	v_lshl_or_b32 v24, v9, 12, v4
	s_delay_alu instid0(VALU_DEP_2) | instskip(SKIP_1) | instid1(VALU_DEP_2)
	v_cndmask_b32_e64 v22, 0, 1, s1
	v_cmp_gt_i32_e64 s1, 1, v9
	v_or_b32_e32 v22, v28, v22
	s_delay_alu instid0(VALU_DEP_1) | instskip(NEXT) | instid1(VALU_DEP_1)
	v_cndmask_b32_e64 v22, v24, v22, s1
	v_and_b32_e32 v24, 7, v22
	s_delay_alu instid0(VALU_DEP_1) | instskip(SKIP_4) | instid1(VALU_DEP_4)
	v_cmp_lt_i32_e64 s1, 5, v24
	v_cmp_eq_u32_e64 s3, 3, v24
	v_cndmask_b32_e64 v24, 0, 1, s2
	v_cmp_ne_u32_e64 s2, 0, v4
	v_add_nc_u32_e32 v4, 0xfffffc10, v14
	s_or_b32 s1, s3, s1
	s_delay_alu instid0(VALU_DEP_3) | instskip(SKIP_1) | instid1(VALU_DEP_3)
	v_or_b32_e32 v15, v15, v24
	v_cmp_ne_u32_e64 s3, 0, v3
	v_lshl_or_b32 v14, v4, 12, v3
	v_cmp_gt_i32_e64 s4, 1, v4
	s_delay_alu instid0(VALU_DEP_1) | instskip(SKIP_2) | instid1(VALU_DEP_3)
	v_cndmask_b32_e64 v14, v14, v15, s4
	v_lshrrev_b32_e32 v15, 2, v22
	v_cndmask_b32_e64 v22, 0, 1, s2
	v_lshrrev_b32_e32 v3, 2, v14
	s_delay_alu instid0(VALU_DEP_3) | instskip(SKIP_1) | instid1(VALU_DEP_4)
	v_add_co_ci_u32_e64 v15, s1, 0, v15, s1
	v_cmp_gt_i32_e64 s1, 31, v9
	v_lshl_or_b32 v22, v22, 9, 0x7c00
	s_delay_alu instid0(VALU_DEP_2) | instskip(SKIP_1) | instid1(VALU_DEP_1)
	v_cndmask_b32_e64 v15, 0x7c00, v15, s1
	v_cmp_eq_u32_e64 s1, 0x40f, v9
	v_cndmask_b32_e64 v9, v15, v22, s1
	v_and_b32_e32 v15, 7, v14
	v_cndmask_b32_e64 v14, 0, 1, s3
	s_delay_alu instid0(VALU_DEP_2) | instskip(SKIP_1) | instid1(VALU_DEP_3)
	v_cmp_lt_i32_e64 s1, 5, v15
	v_cmp_eq_u32_e64 s2, 3, v15
	v_lshl_or_b32 v14, v14, 9, 0x7c00
	s_delay_alu instid0(VALU_DEP_2) | instskip(NEXT) | instid1(SALU_CYCLE_1)
	s_or_b32 s1, s2, s1
	v_add_co_ci_u32_e64 v3, s1, 0, v3, s1
	v_cmp_gt_i32_e64 s1, 31, v4
	s_delay_alu instid0(VALU_DEP_1) | instskip(SKIP_2) | instid1(VALU_DEP_2)
	v_cndmask_b32_e64 v3, 0x7c00, v3, s1
	v_cmp_eq_u32_e64 s1, 0x40f, v4
	v_and_or_b32 v4, 0x8000, v10, v9
	v_cndmask_b32_e64 v3, v3, v14, s1
	s_mul_i32 s1, s9, 0x480
	s_delay_alu instid0(SALU_CYCLE_1) | instskip(SKIP_1) | instid1(VALU_DEP_2)
	s_add_i32 s12, s12, s1
	v_add_co_u32 v28, s1, v12, s13
	v_and_or_b32 v2, 0x8000, v2, v3
	v_and_b32_e32 v3, 0xffff, v4
	v_add_co_ci_u32_e64 v29, s1, s12, v13, s1
	s_delay_alu instid0(VALU_DEP_2)
	v_lshl_or_b32 v2, v2, 16, v3
	ds_load_2addr_b32 v[3:4], v135 offset1:96
	global_store_b32 v[12:13], v2, off
	s_waitcnt lgkmcnt(0)
	v_lshrrev_b32_e32 v24, 16, v4
	s_waitcnt vmcnt(1)
	v_mul_f16_e32 v2, v37, v4
	s_waitcnt vmcnt(0)
	s_delay_alu instid0(VALU_DEP_1) | instskip(NEXT) | instid1(VALU_DEP_1)
	v_fma_f16 v2, v36, v24, -v2
	v_cvt_f32_f16_e32 v2, v2
	s_delay_alu instid0(VALU_DEP_1) | instskip(NEXT) | instid1(VALU_DEP_1)
	v_cvt_f64_f32_e32 v[9:10], v2
	v_mul_f64 v[12:13], v[9:10], s[10:11]
	s_delay_alu instid0(VALU_DEP_1) | instskip(SKIP_2) | instid1(VALU_DEP_3)
	v_and_or_b32 v2, 0x1ff, v13, v12
	v_lshrrev_b32_e32 v9, 8, v13
	v_bfe_u32 v12, v13, 20, 11
	v_cmp_ne_u32_e64 s1, 0, v2
	s_delay_alu instid0(VALU_DEP_1) | instskip(NEXT) | instid1(VALU_DEP_1)
	v_cndmask_b32_e64 v2, 0, 1, s1
	v_and_or_b32 v2, 0xffe, v9, v2
	s_delay_alu instid0(VALU_DEP_4) | instskip(SKIP_1) | instid1(VALU_DEP_3)
	v_sub_nc_u32_e32 v9, 0x3f1, v12
	v_add_nc_u32_e32 v12, 0xfffffc10, v12
	v_or_b32_e32 v10, 0x1000, v2
	s_delay_alu instid0(VALU_DEP_3) | instskip(NEXT) | instid1(VALU_DEP_1)
	v_med3_i32 v9, v9, 0, 13
	v_lshrrev_b32_e32 v22, v9, v10
	s_delay_alu instid0(VALU_DEP_1) | instskip(NEXT) | instid1(VALU_DEP_1)
	v_lshlrev_b32_e32 v9, v9, v22
	v_cmp_ne_u32_e64 s1, v9, v10
	ds_load_2addr_b32 v[9:10], v134 offset0:128 offset1:224
	s_waitcnt lgkmcnt(0)
	v_lshrrev_b32_e32 v14, 16, v9
	v_mul_f16_e32 v15, v30, v9
	s_delay_alu instid0(VALU_DEP_2) | instskip(NEXT) | instid1(VALU_DEP_2)
	v_mul_f16_e32 v30, v30, v14
	v_fma_f16 v32, v184, v14, -v15
	s_delay_alu instid0(VALU_DEP_2) | instskip(NEXT) | instid1(VALU_DEP_1)
	v_fmac_f16_e64 v30, v184, v9
	v_cvt_f32_f16_e32 v9, v30
	s_delay_alu instid0(VALU_DEP_1) | instskip(NEXT) | instid1(VALU_DEP_1)
	v_cvt_f64_f32_e32 v[14:15], v9
	v_mul_f64 v[14:15], v[14:15], s[10:11]
	s_delay_alu instid0(VALU_DEP_1) | instskip(SKIP_1) | instid1(VALU_DEP_2)
	v_and_or_b32 v9, 0x1ff, v15, v14
	v_lshrrev_b32_e32 v14, 8, v15
	v_cmp_ne_u32_e64 s2, 0, v9
	s_delay_alu instid0(VALU_DEP_1) | instskip(NEXT) | instid1(VALU_DEP_1)
	v_cndmask_b32_e64 v9, 0, 1, s2
	v_and_or_b32 v9, 0xffe, v14, v9
	v_bfe_u32 v14, v15, 20, 11
	s_delay_alu instid0(VALU_DEP_2) | instskip(NEXT) | instid1(VALU_DEP_2)
	v_or_b32_e32 v31, 0x1000, v9
	v_sub_nc_u32_e32 v30, 0x3f1, v14
	s_delay_alu instid0(VALU_DEP_1) | instskip(NEXT) | instid1(VALU_DEP_1)
	v_med3_i32 v30, v30, 0, 13
	v_lshrrev_b32_e32 v33, v30, v31
	s_delay_alu instid0(VALU_DEP_1) | instskip(NEXT) | instid1(VALU_DEP_1)
	v_lshlrev_b32_e32 v30, v30, v33
	v_cmp_ne_u32_e64 s2, v30, v31
	v_cvt_f64_f32_e32 v[30:31], v1
	s_delay_alu instid0(VALU_DEP_1) | instskip(NEXT) | instid1(VALU_DEP_1)
	v_mul_f64 v[30:31], v[30:31], s[10:11]
	v_and_or_b32 v1, 0x1ff, v31, v30
	v_lshrrev_b32_e32 v27, 8, v31
	s_delay_alu instid0(VALU_DEP_2) | instskip(NEXT) | instid1(VALU_DEP_1)
	v_cmp_ne_u32_e64 s3, 0, v1
	v_cndmask_b32_e64 v1, 0, 1, s3
	s_delay_alu instid0(VALU_DEP_1) | instskip(SKIP_1) | instid1(VALU_DEP_2)
	v_and_or_b32 v1, 0xffe, v27, v1
	v_bfe_u32 v27, v31, 20, 11
	v_or_b32_e32 v34, 0x1000, v1
	s_delay_alu instid0(VALU_DEP_2) | instskip(SKIP_1) | instid1(VALU_DEP_2)
	v_sub_nc_u32_e32 v30, 0x3f1, v27
	v_add_nc_u32_e32 v27, 0xfffffc10, v27
	v_med3_i32 v30, v30, 0, 13
	s_delay_alu instid0(VALU_DEP_1) | instskip(NEXT) | instid1(VALU_DEP_1)
	v_lshrrev_b32_e32 v35, v30, v34
	v_lshlrev_b32_e32 v30, v30, v35
	s_delay_alu instid0(VALU_DEP_1) | instskip(SKIP_1) | instid1(VALU_DEP_2)
	v_cmp_ne_u32_e64 s3, v30, v34
	v_lshl_or_b32 v34, v27, 12, v1
	v_cndmask_b32_e64 v30, 0, 1, s3
	v_cmp_gt_i32_e64 s3, 1, v27
	s_delay_alu instid0(VALU_DEP_2) | instskip(NEXT) | instid1(VALU_DEP_1)
	v_or_b32_e32 v30, v35, v30
	v_cndmask_b32_e64 v30, v34, v30, s3
	s_delay_alu instid0(VALU_DEP_1) | instskip(NEXT) | instid1(VALU_DEP_1)
	v_and_b32_e32 v34, 7, v30
	v_cmp_lt_i32_e64 s3, 5, v34
	v_cmp_eq_u32_e64 s4, 3, v34
	v_cndmask_b32_e64 v34, 0, 1, s0
	v_cmp_ne_u32_e64 s0, 0, v1
	v_add_nc_u32_e32 v1, 0xfffffc10, v25
	s_delay_alu instid0(VALU_DEP_4) | instskip(NEXT) | instid1(VALU_DEP_3)
	s_or_b32 s3, s4, s3
	v_or_b32_e32 v26, v26, v34
	v_cmp_ne_u32_e64 s4, 0, v23
	s_delay_alu instid0(VALU_DEP_3) | instskip(SKIP_1) | instid1(VALU_DEP_1)
	v_lshl_or_b32 v25, v1, 12, v23
	v_cmp_gt_i32_e64 s5, 1, v1
	v_cndmask_b32_e64 v25, v25, v26, s5
	v_lshrrev_b32_e32 v26, 2, v30
	v_cndmask_b32_e64 v30, 0, 1, s0
	v_cmp_eq_u32_e64 s0, 0x40f, v27
	s_delay_alu instid0(VALU_DEP_4) | instskip(NEXT) | instid1(VALU_DEP_4)
	v_lshrrev_b32_e32 v23, 2, v25
	v_add_co_ci_u32_e64 v26, s3, 0, v26, s3
	v_cmp_gt_i32_e64 s3, 31, v27
	v_lshl_or_b32 v30, v30, 9, 0x7c00
	v_and_b32_e32 v27, 7, v25
	v_cndmask_b32_e64 v25, 0, 1, s4
	s_delay_alu instid0(VALU_DEP_4) | instskip(NEXT) | instid1(VALU_DEP_3)
	v_cndmask_b32_e64 v26, 0x7c00, v26, s3
	v_cmp_eq_u32_e64 s3, 3, v27
	s_delay_alu instid0(VALU_DEP_3) | instskip(NEXT) | instid1(VALU_DEP_3)
	v_lshl_or_b32 v25, v25, 9, 0x7c00
	v_cndmask_b32_e64 v26, v26, v30, s0
	v_cmp_lt_i32_e64 s0, 5, v27
	v_lshrrev_b32_e32 v27, 16, v31
	s_delay_alu instid0(VALU_DEP_2) | instskip(NEXT) | instid1(SALU_CYCLE_1)
	s_or_b32 s0, s3, s0
	v_add_co_ci_u32_e64 v23, s0, 0, v23, s0
	v_cmp_gt_i32_e64 s0, 31, v1
	s_delay_alu instid0(VALU_DEP_1) | instskip(SKIP_1) | instid1(VALU_DEP_1)
	v_cndmask_b32_e64 v23, 0x7c00, v23, s0
	v_cmp_eq_u32_e64 s0, 0x40f, v1
	v_cndmask_b32_e64 v1, v23, v25, s0
	v_and_or_b32 v23, 0x8000, v27, v26
	v_add_co_u32 v25, s0, v28, s13
	s_delay_alu instid0(VALU_DEP_1) | instskip(NEXT) | instid1(VALU_DEP_4)
	v_add_co_ci_u32_e64 v26, s0, s12, v29, s0
	v_and_or_b32 v1, 0x8000, v8, v1
	s_delay_alu instid0(VALU_DEP_4) | instskip(NEXT) | instid1(VALU_DEP_1)
	v_and_b32_e32 v8, 0xffff, v23
	v_lshl_or_b32 v1, v1, 16, v8
	global_store_b32 v[28:29], v1, off
	v_cvt_f32_f16_e32 v1, v32
	s_delay_alu instid0(VALU_DEP_1) | instskip(NEXT) | instid1(VALU_DEP_1)
	v_cvt_f64_f32_e32 v[27:28], v1
	v_mul_f64 v[27:28], v[27:28], s[10:11]
	s_delay_alu instid0(VALU_DEP_1) | instskip(SKIP_2) | instid1(VALU_DEP_3)
	v_and_or_b32 v1, 0x1ff, v28, v27
	v_lshrrev_b32_e32 v8, 8, v28
	v_bfe_u32 v27, v28, 20, 11
	v_cmp_ne_u32_e64 s0, 0, v1
	s_delay_alu instid0(VALU_DEP_1) | instskip(NEXT) | instid1(VALU_DEP_1)
	v_cndmask_b32_e64 v1, 0, 1, s0
	v_and_or_b32 v8, 0xffe, v8, v1
	s_delay_alu instid0(VALU_DEP_4) | instskip(NEXT) | instid1(VALU_DEP_2)
	v_sub_nc_u32_e32 v1, 0x3f1, v27
	v_or_b32_e32 v23, 0x1000, v8
	s_delay_alu instid0(VALU_DEP_2) | instskip(NEXT) | instid1(VALU_DEP_1)
	v_med3_i32 v1, v1, 0, 13
	v_lshrrev_b32_e32 v34, v1, v23
	s_delay_alu instid0(VALU_DEP_1) | instskip(NEXT) | instid1(VALU_DEP_1)
	v_lshlrev_b32_e32 v1, v1, v34
	v_cmp_ne_u32_e64 s0, v1, v23
	scratch_load_b32 v23, off, off offset:256 ; 4-byte Folded Reload
	s_waitcnt vmcnt(0)
	v_mad_u64_u32 v[29:30], null, s8, v23, 0
	s_delay_alu instid0(VALU_DEP_1) | instskip(NEXT) | instid1(VALU_DEP_1)
	v_mov_b32_e32 v1, v30
	v_mad_u64_u32 v[30:31], null, s9, v23, v[1:2]
	v_mul_f16_e32 v1, v39, v16
	s_delay_alu instid0(VALU_DEP_1) | instskip(NEXT) | instid1(VALU_DEP_1)
	v_fmac_f16_e32 v1, v38, v6
	v_cvt_f32_f16_e32 v1, v1
	s_delay_alu instid0(VALU_DEP_1) | instskip(NEXT) | instid1(VALU_DEP_1)
	v_cvt_f64_f32_e32 v[31:32], v1
	v_mul_f64 v[31:32], v[31:32], s[10:11]
	s_delay_alu instid0(VALU_DEP_1) | instskip(SKIP_1) | instid1(VALU_DEP_2)
	v_and_or_b32 v1, 0x1ff, v32, v31
	v_lshrrev_b32_e32 v6, 8, v32
	v_cmp_ne_u32_e64 s3, 0, v1
	s_delay_alu instid0(VALU_DEP_1) | instskip(NEXT) | instid1(VALU_DEP_1)
	v_cndmask_b32_e64 v1, 0, 1, s3
	v_and_or_b32 v1, 0xffe, v6, v1
	v_bfe_u32 v6, v32, 20, 11
	s_delay_alu instid0(VALU_DEP_2) | instskip(NEXT) | instid1(VALU_DEP_2)
	v_or_b32_e32 v23, 0x1000, v1
	v_sub_nc_u32_e32 v16, 0x3f1, v6
	v_add_nc_u32_e32 v6, 0xfffffc10, v6
	s_delay_alu instid0(VALU_DEP_2) | instskip(NEXT) | instid1(VALU_DEP_1)
	v_med3_i32 v16, v16, 0, 13
	v_lshrrev_b32_e32 v31, v16, v23
	s_delay_alu instid0(VALU_DEP_1) | instskip(NEXT) | instid1(VALU_DEP_1)
	v_lshlrev_b32_e32 v16, v16, v31
	v_cmp_ne_u32_e64 s3, v16, v23
	v_lshl_or_b32 v23, v6, 12, v1
	s_delay_alu instid0(VALU_DEP_2) | instskip(SKIP_1) | instid1(VALU_DEP_2)
	v_cndmask_b32_e64 v16, 0, 1, s3
	v_cmp_gt_i32_e64 s3, 1, v6
	v_or_b32_e32 v16, v31, v16
	s_delay_alu instid0(VALU_DEP_1) | instskip(NEXT) | instid1(VALU_DEP_1)
	v_cndmask_b32_e64 v16, v23, v16, s3
	v_and_b32_e32 v23, 7, v16
	v_lshrrev_b32_e32 v16, 2, v16
	s_delay_alu instid0(VALU_DEP_2) | instskip(SKIP_4) | instid1(VALU_DEP_4)
	v_cmp_lt_i32_e64 s3, 5, v23
	v_cmp_eq_u32_e64 s4, 3, v23
	v_cndmask_b32_e64 v23, 0, 1, vcc_lo
	v_cmp_ne_u32_e32 vcc_lo, 0, v1
	v_add_nc_u32_e32 v1, 0xfffffc10, v18
	s_or_b32 s3, s4, s3
	s_delay_alu instid0(VALU_DEP_3) | instskip(SKIP_1) | instid1(VALU_DEP_3)
	v_or_b32_e32 v21, v21, v23
	v_add_co_ci_u32_e64 v16, s3, 0, v16, s3
	v_lshl_or_b32 v18, v1, 12, v17
	v_cmp_gt_i32_e64 s5, 1, v1
	v_cmp_gt_i32_e64 s3, 31, v6
	v_cmp_ne_u32_e64 s4, 0, v17
	s_delay_alu instid0(VALU_DEP_3) | instskip(SKIP_1) | instid1(VALU_DEP_4)
	v_cndmask_b32_e64 v18, v18, v21, s5
	v_cndmask_b32_e64 v21, 0, 1, vcc_lo
	v_cndmask_b32_e64 v16, 0x7c00, v16, s3
	v_cmp_eq_u32_e32 vcc_lo, 0x40f, v6
	s_delay_alu instid0(VALU_DEP_4) | instskip(NEXT) | instid1(VALU_DEP_4)
	v_lshrrev_b32_e32 v17, 2, v18
	v_lshl_or_b32 v21, v21, 9, 0x7c00
	s_delay_alu instid0(VALU_DEP_1) | instskip(SKIP_2) | instid1(VALU_DEP_3)
	v_dual_cndmask_b32 v6, v16, v21 :: v_dual_and_b32 v21, 7, v18
	v_cndmask_b32_e64 v18, 0, 1, s4
	v_lshrrev_b32_e32 v16, 16, v32
	v_cmp_lt_i32_e32 vcc_lo, 5, v21
	v_cmp_eq_u32_e64 s3, 3, v21
	s_delay_alu instid0(VALU_DEP_4) | instskip(NEXT) | instid1(VALU_DEP_4)
	v_lshl_or_b32 v18, v18, 9, 0x7c00
	v_and_or_b32 v6, 0x8000, v16, v6
	s_delay_alu instid0(VALU_DEP_3) | instskip(SKIP_2) | instid1(VALU_DEP_2)
	s_or_b32 vcc_lo, s3, vcc_lo
	v_add_co_ci_u32_e32 v17, vcc_lo, 0, v17, vcc_lo
	v_cmp_gt_i32_e32 vcc_lo, 31, v1
	v_cndmask_b32_e32 v17, 0x7c00, v17, vcc_lo
	v_cmp_eq_u32_e32 vcc_lo, 0x40f, v1
	s_delay_alu instid0(VALU_DEP_2) | instskip(SKIP_2) | instid1(VALU_DEP_3)
	v_cndmask_b32_e32 v1, v17, v18, vcc_lo
	v_add_co_u32 v16, vcc_lo, v25, s13
	v_add_co_ci_u32_e32 v17, vcc_lo, s12, v26, vcc_lo
	v_and_or_b32 v1, 0x8000, v5, v1
	v_and_b32_e32 v5, 0xffff, v6
	s_delay_alu instid0(VALU_DEP_1)
	v_lshl_or_b32 v1, v1, 16, v5
	v_lshlrev_b64 v[5:6], 2, v[29:30]
	global_store_b32 v[25:26], v1, off
	v_mul_f16_e32 v1, v37, v24
	v_add_co_u32 v5, vcc_lo, v20, v5
	v_add_co_ci_u32_e32 v6, vcc_lo, v19, v6, vcc_lo
	s_delay_alu instid0(VALU_DEP_3) | instskip(NEXT) | instid1(VALU_DEP_1)
	v_fmac_f16_e32 v1, v36, v4
	v_cvt_f32_f16_e32 v1, v1
	s_delay_alu instid0(VALU_DEP_1) | instskip(NEXT) | instid1(VALU_DEP_1)
	v_cvt_f64_f32_e32 v[23:24], v1
	v_mul_f64 v[23:24], v[23:24], s[10:11]
	s_delay_alu instid0(VALU_DEP_1) | instskip(SKIP_1) | instid1(VALU_DEP_2)
	v_and_or_b32 v1, 0x1ff, v24, v23
	v_lshrrev_b32_e32 v4, 8, v24
	v_cmp_ne_u32_e32 vcc_lo, 0, v1
	v_cndmask_b32_e64 v1, 0, 1, vcc_lo
	s_delay_alu instid0(VALU_DEP_1) | instskip(SKIP_1) | instid1(VALU_DEP_2)
	v_and_or_b32 v1, 0xffe, v4, v1
	v_bfe_u32 v4, v24, 20, 11
	v_or_b32_e32 v21, 0x1000, v1
	s_delay_alu instid0(VALU_DEP_2) | instskip(SKIP_2) | instid1(VALU_DEP_3)
	v_sub_nc_u32_e32 v18, 0x3f1, v4
	v_add_nc_u32_e32 v4, 0xfffffc10, v4
	v_cmp_ne_u32_e64 s4, 0, v1
	v_med3_i32 v18, v18, 0, 13
	s_delay_alu instid0(VALU_DEP_1) | instskip(NEXT) | instid1(VALU_DEP_1)
	v_lshrrev_b32_e32 v23, v18, v21
	v_lshlrev_b32_e32 v18, v18, v23
	s_delay_alu instid0(VALU_DEP_1)
	v_cmp_ne_u32_e32 vcc_lo, v18, v21
	v_lshl_or_b32 v21, v4, 12, v1
	v_cndmask_b32_e64 v1, 0, 1, s1
	v_cmp_gt_i32_e64 s1, 1, v12
	v_cndmask_b32_e64 v18, 0, 1, vcc_lo
	v_cmp_gt_i32_e32 vcc_lo, 1, v4
	s_delay_alu instid0(VALU_DEP_4) | instskip(NEXT) | instid1(VALU_DEP_3)
	v_or_b32_e32 v1, v22, v1
	v_or_b32_e32 v18, v23, v18
	s_delay_alu instid0(VALU_DEP_1) | instskip(NEXT) | instid1(VALU_DEP_1)
	v_cndmask_b32_e32 v18, v21, v18, vcc_lo
	v_and_b32_e32 v21, 7, v18
	v_lshrrev_b32_e32 v18, 2, v18
	s_delay_alu instid0(VALU_DEP_2) | instskip(SKIP_2) | instid1(VALU_DEP_2)
	v_cmp_lt_i32_e32 vcc_lo, 5, v21
	v_cmp_eq_u32_e64 s3, 3, v21
	v_lshl_or_b32 v21, v12, 12, v2
	s_or_b32 vcc_lo, s3, vcc_lo
	s_delay_alu instid0(VALU_DEP_1)
	v_cndmask_b32_e64 v1, v21, v1, s1
	v_add_co_ci_u32_e32 v18, vcc_lo, 0, v18, vcc_lo
	v_cmp_gt_i32_e32 vcc_lo, 31, v4
	v_cndmask_b32_e64 v21, 0, 1, s4
	v_cmp_ne_u32_e64 s3, 0, v2
	v_cndmask_b32_e64 v2, 0, 1, s2
	v_cndmask_b32_e32 v18, 0x7c00, v18, vcc_lo
	s_delay_alu instid0(VALU_DEP_4) | instskip(SKIP_1) | instid1(VALU_DEP_4)
	v_lshl_or_b32 v21, v21, 9, 0x7c00
	v_cmp_eq_u32_e32 vcc_lo, 0x40f, v4
	v_or_b32_e32 v2, v33, v2
	s_delay_alu instid0(VALU_DEP_3) | instskip(SKIP_3) | instid1(VALU_DEP_3)
	v_cndmask_b32_e32 v4, v18, v21, vcc_lo
	v_and_b32_e32 v21, 7, v1
	v_lshrrev_b32_e32 v1, 2, v1
	v_lshrrev_b32_e32 v18, 16, v24
	v_cmp_lt_i32_e32 vcc_lo, 5, v21
	v_cmp_eq_u32_e64 s1, 3, v21
	v_cndmask_b32_e64 v21, 0, 1, s3
	s_delay_alu instid0(VALU_DEP_4) | instskip(NEXT) | instid1(VALU_DEP_3)
	v_and_or_b32 v4, 0x8000, v18, v4
	s_or_b32 vcc_lo, s1, vcc_lo
	s_delay_alu instid0(VALU_DEP_2) | instskip(SKIP_3) | instid1(VALU_DEP_3)
	v_lshl_or_b32 v21, v21, 9, 0x7c00
	v_add_co_ci_u32_e32 v1, vcc_lo, 0, v1, vcc_lo
	v_cmp_gt_i32_e32 vcc_lo, 31, v12
	v_and_b32_e32 v4, 0xffff, v4
	v_cndmask_b32_e32 v1, 0x7c00, v1, vcc_lo
	v_cmp_eq_u32_e32 vcc_lo, 0x40f, v12
	v_lshrrev_b32_e32 v12, 16, v13
	v_add_nc_u32_e32 v13, 0xfffffc10, v14
	s_delay_alu instid0(VALU_DEP_4) | instskip(NEXT) | instid1(VALU_DEP_2)
	v_cndmask_b32_e32 v1, v1, v21, vcc_lo
	v_lshl_or_b32 v14, v13, 12, v9
	v_cmp_gt_i32_e32 vcc_lo, 1, v13
	s_delay_alu instid0(VALU_DEP_3) | instskip(NEXT) | instid1(VALU_DEP_3)
	v_and_or_b32 v1, 0x8000, v12, v1
	v_cndmask_b32_e32 v2, v14, v2, vcc_lo
	s_delay_alu instid0(VALU_DEP_2) | instskip(NEXT) | instid1(VALU_DEP_2)
	v_lshl_or_b32 v1, v1, 16, v4
	v_and_b32_e32 v12, 7, v2
	v_lshrrev_b32_e32 v2, 2, v2
	s_delay_alu instid0(VALU_DEP_2) | instskip(SKIP_4) | instid1(VALU_DEP_4)
	v_cmp_lt_i32_e32 vcc_lo, 5, v12
	v_cmp_eq_u32_e64 s1, 3, v12
	v_cndmask_b32_e64 v12, 0, 1, s0
	v_cmp_ne_u32_e64 s0, 0, v9
	v_add_nc_u32_e32 v9, 0xfffffc10, v27
	s_or_b32 vcc_lo, s1, vcc_lo
	s_delay_alu instid0(VALU_DEP_3) | instskip(SKIP_1) | instid1(VALU_DEP_3)
	v_or_b32_e32 v12, v34, v12
	v_add_co_ci_u32_e32 v2, vcc_lo, 0, v2, vcc_lo
	v_lshl_or_b32 v14, v9, 12, v8
	v_cmp_gt_i32_e64 s2, 1, v9
	v_cmp_gt_i32_e32 vcc_lo, 31, v13
	v_cmp_ne_u32_e64 s1, 0, v8
	s_delay_alu instid0(VALU_DEP_3)
	v_cndmask_b32_e64 v12, v14, v12, s2
	v_cndmask_b32_e64 v14, 0, 1, s0
	v_cndmask_b32_e32 v2, 0x7c00, v2, vcc_lo
	v_cmp_eq_u32_e32 vcc_lo, 0x40f, v13
	v_lshrrev_b32_e32 v13, 16, v15
	v_lshrrev_b32_e32 v8, 2, v12
	v_lshl_or_b32 v14, v14, 9, 0x7c00
	s_mul_i32 s2, s9, 0x900
	s_delay_alu instid0(SALU_CYCLE_1) | instskip(NEXT) | instid1(VALU_DEP_1)
	s_add_i32 s14, s14, s2
	v_cndmask_b32_e32 v2, v2, v14, vcc_lo
	v_and_b32_e32 v14, 7, v12
	v_cndmask_b32_e64 v12, 0, 1, s1
	s_delay_alu instid0(VALU_DEP_3) | instskip(NEXT) | instid1(VALU_DEP_3)
	v_and_or_b32 v2, 0x8000, v13, v2
	v_cmp_lt_i32_e32 vcc_lo, 5, v14
	v_cmp_eq_u32_e64 s0, 3, v14
	s_delay_alu instid0(VALU_DEP_4) | instskip(NEXT) | instid1(VALU_DEP_4)
	v_lshl_or_b32 v12, v12, 9, 0x7c00
	v_and_b32_e32 v2, 0xffff, v2
	s_delay_alu instid0(VALU_DEP_3) | instskip(SKIP_2) | instid1(VALU_DEP_2)
	s_or_b32 vcc_lo, s0, vcc_lo
	v_add_co_ci_u32_e32 v8, vcc_lo, 0, v8, vcc_lo
	v_cmp_gt_i32_e32 vcc_lo, 31, v9
	v_cndmask_b32_e32 v8, 0x7c00, v8, vcc_lo
	v_cmp_eq_u32_e32 vcc_lo, 0x40f, v9
	v_lshrrev_b32_e32 v9, 16, v28
	s_delay_alu instid0(VALU_DEP_3) | instskip(NEXT) | instid1(VALU_DEP_1)
	v_cndmask_b32_e32 v8, v8, v12, vcc_lo
	v_and_or_b32 v4, 0x8000, v9, v8
	s_delay_alu instid0(VALU_DEP_1)
	v_lshl_or_b32 v2, v4, 16, v2
	s_clause 0x1
	global_store_b32 v[16:17], v1, off
	global_store_b32 v[5:6], v2, off
	s_clause 0x5
	scratch_load_b32 v34, off, off offset:212
	scratch_load_b32 v33, off, off offset:208
	;; [unrolled: 1-line block ×6, first 2 shown]
	ds_load_2addr_b32 v[4:5], v123 offset0:64 offset1:160
	ds_load_2addr_b32 v[8:9], v124 offset0:64 offset1:160
	s_waitcnt lgkmcnt(1)
	v_lshrrev_b32_e32 v6, 16, v5
	s_waitcnt lgkmcnt(0)
	v_lshrrev_b32_e32 v29, 16, v8
	s_waitcnt vmcnt(5)
	v_mul_f16_e32 v1, v34, v5
	s_waitcnt vmcnt(4)
	s_delay_alu instid0(VALU_DEP_1) | instskip(SKIP_1) | instid1(VALU_DEP_2)
	v_fma_f16 v1, v33, v6, -v1
	v_mul_f16_e32 v6, v34, v6
	v_cvt_f32_f16_e32 v1, v1
	s_delay_alu instid0(VALU_DEP_2) | instskip(NEXT) | instid1(VALU_DEP_2)
	v_fmac_f16_e32 v6, v33, v5
	v_cvt_f64_f32_e32 v[1:2], v1
	s_delay_alu instid0(VALU_DEP_2) | instskip(NEXT) | instid1(VALU_DEP_1)
	v_cvt_f32_f16_e32 v5, v6
	v_cvt_f64_f32_e32 v[5:6], v5
	s_delay_alu instid0(VALU_DEP_3) | instskip(NEXT) | instid1(VALU_DEP_2)
	v_mul_f64 v[22:23], v[1:2], s[10:11]
	v_mul_f64 v[5:6], v[5:6], s[10:11]
	s_delay_alu instid0(VALU_DEP_2) | instskip(SKIP_2) | instid1(VALU_DEP_3)
	v_and_or_b32 v1, 0x1ff, v23, v22
	v_lshrrev_b32_e32 v2, 8, v23
	v_bfe_u32 v27, v23, 20, 11
	v_cmp_ne_u32_e32 vcc_lo, 0, v1
	v_and_or_b32 v5, 0x1ff, v6, v5
	v_cndmask_b32_e64 v1, 0, 1, vcc_lo
	s_delay_alu instid0(VALU_DEP_2) | instskip(NEXT) | instid1(VALU_DEP_2)
	v_cmp_ne_u32_e64 s2, 0, v5
	v_and_or_b32 v26, 0xffe, v2, v1
	v_sub_nc_u32_e32 v1, 0x3f1, v27
	s_delay_alu instid0(VALU_DEP_3) | instskip(NEXT) | instid1(VALU_DEP_3)
	v_cndmask_b32_e64 v5, 0, 1, s2
	v_or_b32_e32 v2, 0x1000, v26
	s_delay_alu instid0(VALU_DEP_3) | instskip(NEXT) | instid1(VALU_DEP_1)
	v_med3_i32 v1, v1, 0, 13
	v_lshrrev_b32_e32 v28, v1, v2
	s_delay_alu instid0(VALU_DEP_1) | instskip(NEXT) | instid1(VALU_DEP_1)
	v_lshlrev_b32_e32 v1, v1, v28
	v_cmp_ne_u32_e64 s0, v1, v2
	s_waitcnt vmcnt(3)
	v_mul_f16_e32 v1, v38, v8
	s_waitcnt vmcnt(2)
	s_delay_alu instid0(VALU_DEP_1) | instskip(NEXT) | instid1(VALU_DEP_1)
	v_fma_f16 v1, v37, v29, -v1
	v_cvt_f32_f16_e32 v1, v1
	s_delay_alu instid0(VALU_DEP_1) | instskip(NEXT) | instid1(VALU_DEP_1)
	v_cvt_f64_f32_e32 v[1:2], v1
	v_mul_f64 v[14:15], v[1:2], s[10:11]
	s_delay_alu instid0(VALU_DEP_1) | instskip(SKIP_3) | instid1(VALU_DEP_4)
	v_and_or_b32 v1, 0x1ff, v15, v14
	v_lshrrev_b32_e32 v2, 8, v15
	v_bfe_u32 v31, v15, 20, 11
	v_lshrrev_b32_e32 v15, 16, v15
	v_cmp_ne_u32_e32 vcc_lo, 0, v1
	v_cndmask_b32_e64 v1, 0, 1, vcc_lo
	v_add_co_u32 v24, vcc_lo, v16, s15
	v_add_co_ci_u32_e32 v25, vcc_lo, s14, v17, vcc_lo
	s_delay_alu instid0(VALU_DEP_3) | instskip(SKIP_1) | instid1(VALU_DEP_2)
	v_and_or_b32 v30, 0xffe, v2, v1
	v_sub_nc_u32_e32 v1, 0x3f1, v31
	v_or_b32_e32 v2, 0x1000, v30
	s_delay_alu instid0(VALU_DEP_2) | instskip(NEXT) | instid1(VALU_DEP_1)
	v_med3_i32 v1, v1, 0, 13
	v_lshrrev_b32_e32 v32, v1, v2
	s_delay_alu instid0(VALU_DEP_1) | instskip(NEXT) | instid1(VALU_DEP_1)
	v_lshlrev_b32_e32 v1, v1, v32
	v_cmp_ne_u32_e64 s1, v1, v2
	ds_load_2addr_b32 v[1:2], v119 offset0:128 offset1:224
	s_waitcnt lgkmcnt(0)
	v_lshrrev_b32_e32 v17, 16, v2
	s_waitcnt vmcnt(1)
	v_mul_f16_e32 v12, v36, v2
	s_waitcnt vmcnt(0)
	s_delay_alu instid0(VALU_DEP_1) | instskip(SKIP_1) | instid1(VALU_DEP_2)
	v_fma_f16 v12, v35, v17, -v12
	v_mul_f16_e32 v17, v36, v17
	v_cvt_f32_f16_e32 v12, v12
	s_delay_alu instid0(VALU_DEP_2) | instskip(NEXT) | instid1(VALU_DEP_2)
	v_fmac_f16_e32 v17, v35, v2
	v_cvt_f64_f32_e32 v[12:13], v12
	s_delay_alu instid0(VALU_DEP_2) | instskip(NEXT) | instid1(VALU_DEP_2)
	v_cvt_f32_f16_e32 v2, v17
	v_mul_f64 v[13:14], v[12:13], s[10:11]
	s_delay_alu instid0(VALU_DEP_1) | instskip(SKIP_3) | instid1(VALU_DEP_4)
	v_and_or_b32 v12, 0x1ff, v14, v13
	v_lshrrev_b32_e32 v13, 8, v14
	v_bfe_u32 v21, v14, 20, 11
	v_lshrrev_b32_e32 v14, 16, v14
	v_cmp_ne_u32_e32 vcc_lo, 0, v12
	v_cndmask_b32_e64 v12, 0, 1, vcc_lo
	s_delay_alu instid0(VALU_DEP_1) | instskip(SKIP_2) | instid1(VALU_DEP_3)
	v_and_or_b32 v18, 0xffe, v13, v12
	v_sub_nc_u32_e32 v12, 0x3f1, v21
	v_add_nc_u32_e32 v21, 0xfffffc10, v21
	v_or_b32_e32 v13, 0x1000, v18
	s_delay_alu instid0(VALU_DEP_3) | instskip(NEXT) | instid1(VALU_DEP_1)
	v_med3_i32 v12, v12, 0, 13
	v_lshrrev_b32_e32 v22, v12, v13
	s_delay_alu instid0(VALU_DEP_1) | instskip(NEXT) | instid1(VALU_DEP_1)
	v_lshlrev_b32_e32 v12, v12, v22
	v_cmp_ne_u32_e32 vcc_lo, v12, v13
	v_lshrrev_b32_e32 v12, 8, v6
	s_delay_alu instid0(VALU_DEP_1) | instskip(SKIP_2) | instid1(VALU_DEP_3)
	v_and_or_b32 v5, 0xffe, v12, v5
	v_bfe_u32 v12, v6, 20, 11
	v_lshrrev_b32_e32 v6, 16, v6
	v_or_b32_e32 v16, 0x1000, v5
	s_delay_alu instid0(VALU_DEP_3) | instskip(SKIP_1) | instid1(VALU_DEP_2)
	v_sub_nc_u32_e32 v13, 0x3f1, v12
	v_add_nc_u32_e32 v12, 0xfffffc10, v12
	v_med3_i32 v13, v13, 0, 13
	s_delay_alu instid0(VALU_DEP_1) | instskip(NEXT) | instid1(VALU_DEP_1)
	v_lshrrev_b32_e32 v33, v13, v16
	v_lshlrev_b32_e32 v13, v13, v33
	s_delay_alu instid0(VALU_DEP_1) | instskip(SKIP_1) | instid1(VALU_DEP_2)
	v_cmp_ne_u32_e64 s2, v13, v16
	v_lshl_or_b32 v16, v12, 12, v5
	v_cndmask_b32_e64 v13, 0, 1, s2
	v_cmp_gt_i32_e64 s2, 1, v12
	s_delay_alu instid0(VALU_DEP_2) | instskip(NEXT) | instid1(VALU_DEP_1)
	v_or_b32_e32 v13, v33, v13
	v_cndmask_b32_e64 v13, v16, v13, s2
	s_delay_alu instid0(VALU_DEP_1) | instskip(SKIP_1) | instid1(VALU_DEP_2)
	v_and_b32_e32 v16, 7, v13
	v_lshrrev_b32_e32 v13, 2, v13
	v_cmp_lt_i32_e64 s2, 5, v16
	v_cmp_eq_u32_e64 s3, 3, v16
	v_cndmask_b32_e64 v16, 0, 1, s0
	v_cmp_ne_u32_e64 s0, 0, v5
	v_add_nc_u32_e32 v5, 0xfffffc10, v27
	s_delay_alu instid0(VALU_DEP_4) | instskip(NEXT) | instid1(VALU_DEP_3)
	s_or_b32 s2, s3, s2
	v_or_b32_e32 v16, v28, v16
	v_add_co_ci_u32_e64 v13, s2, 0, v13, s2
	s_delay_alu instid0(VALU_DEP_3) | instskip(SKIP_3) | instid1(VALU_DEP_3)
	v_lshl_or_b32 v27, v5, 12, v26
	v_cmp_gt_i32_e64 s4, 1, v5
	v_cmp_gt_i32_e64 s2, 31, v12
	v_cmp_ne_u32_e64 s3, 0, v26
	v_cndmask_b32_e64 v16, v27, v16, s4
	v_cndmask_b32_e64 v27, 0, 1, s0
	s_delay_alu instid0(VALU_DEP_4) | instskip(SKIP_1) | instid1(VALU_DEP_3)
	v_cndmask_b32_e64 v13, 0x7c00, v13, s2
	v_cmp_eq_u32_e64 s0, 0x40f, v12
	v_lshl_or_b32 v27, v27, 9, 0x7c00
	s_delay_alu instid0(VALU_DEP_1) | instskip(SKIP_1) | instid1(VALU_DEP_2)
	v_cndmask_b32_e64 v12, v13, v27, s0
	v_and_b32_e32 v13, 7, v16
	v_and_or_b32 v6, 0x8000, v6, v12
	s_delay_alu instid0(VALU_DEP_2) | instskip(SKIP_4) | instid1(VALU_DEP_4)
	v_cmp_lt_i32_e64 s0, 5, v13
	v_cmp_eq_u32_e64 s2, 3, v13
	v_lshrrev_b32_e32 v13, 2, v16
	v_cndmask_b32_e64 v16, 0, 1, s3
	v_and_b32_e32 v6, 0xffff, v6
	s_or_b32 s0, s2, s0
	s_delay_alu instid0(VALU_DEP_3) | instid1(SALU_CYCLE_1)
	v_add_co_ci_u32_e64 v13, s0, 0, v13, s0
	v_cmp_gt_i32_e64 s0, 31, v5
	v_lshl_or_b32 v16, v16, 9, 0x7c00
	s_delay_alu instid0(VALU_DEP_2) | instskip(SKIP_1) | instid1(VALU_DEP_1)
	v_cndmask_b32_e64 v13, 0x7c00, v13, s0
	v_cmp_eq_u32_e64 s0, 0x40f, v5
	v_cndmask_b32_e64 v5, v13, v16, s0
	v_lshrrev_b32_e32 v13, 16, v23
	scratch_load_b32 v16, off, off offset:188 ; 4-byte Folded Reload
	v_add_co_u32 v23, s0, v24, s13
	v_and_or_b32 v5, 0x8000, v13, v5
	ds_load_2addr_b32 v[12:13], v118 offset1:96
	v_lshl_or_b32 v5, v5, 16, v6
	global_store_b32 v[24:25], v5, off
	v_add_co_ci_u32_e64 v24, s0, s12, v25, s0
	scratch_load_b32 v25, off, off offset:184 ; 4-byte Folded Reload
	s_waitcnt lgkmcnt(0)
	v_lshrrev_b32_e32 v5, 16, v12
	s_waitcnt vmcnt(1)
	v_mul_f16_e32 v6, v16, v12
	s_delay_alu instid0(VALU_DEP_2) | instskip(SKIP_1) | instid1(VALU_DEP_1)
	v_mul_f16_e32 v16, v16, v5
	s_waitcnt vmcnt(0)
	v_fmac_f16_e32 v16, v25, v12
	s_delay_alu instid0(VALU_DEP_3) | instskip(NEXT) | instid1(VALU_DEP_2)
	v_fma_f16 v27, v25, v5, -v6
	v_cvt_f32_f16_e32 v5, v16
	s_delay_alu instid0(VALU_DEP_1) | instskip(NEXT) | instid1(VALU_DEP_1)
	v_cvt_f64_f32_e32 v[5:6], v5
	v_mul_f64 v[5:6], v[5:6], s[10:11]
	s_delay_alu instid0(VALU_DEP_1) | instskip(SKIP_2) | instid1(VALU_DEP_3)
	v_and_or_b32 v5, 0x1ff, v6, v5
	v_lshrrev_b32_e32 v12, 8, v6
	v_bfe_u32 v33, v6, 20, 11
	v_cmp_ne_u32_e64 s0, 0, v5
	s_delay_alu instid0(VALU_DEP_1) | instskip(NEXT) | instid1(VALU_DEP_1)
	v_cndmask_b32_e64 v5, 0, 1, s0
	v_and_or_b32 v12, 0xffe, v12, v5
	s_delay_alu instid0(VALU_DEP_4) | instskip(NEXT) | instid1(VALU_DEP_2)
	v_sub_nc_u32_e32 v5, 0x3f1, v33
	v_or_b32_e32 v16, 0x1000, v12
	s_delay_alu instid0(VALU_DEP_2) | instskip(NEXT) | instid1(VALU_DEP_1)
	v_med3_i32 v5, v5, 0, 13
	v_lshrrev_b32_e32 v34, v5, v16
	s_delay_alu instid0(VALU_DEP_1) | instskip(NEXT) | instid1(VALU_DEP_1)
	v_lshlrev_b32_e32 v5, v5, v34
	v_cmp_ne_u32_e64 s0, v5, v16
	v_mul_f16_e32 v5, v38, v29
	s_delay_alu instid0(VALU_DEP_1) | instskip(NEXT) | instid1(VALU_DEP_1)
	v_fmac_f16_e32 v5, v37, v8
	v_cvt_f32_f16_e32 v5, v5
	s_delay_alu instid0(VALU_DEP_1) | instskip(NEXT) | instid1(VALU_DEP_1)
	v_cvt_f64_f32_e32 v[25:26], v5
	v_mul_f64 v[25:26], v[25:26], s[10:11]
	s_delay_alu instid0(VALU_DEP_1) | instskip(SKIP_1) | instid1(VALU_DEP_2)
	v_and_or_b32 v5, 0x1ff, v26, v25
	v_lshrrev_b32_e32 v8, 8, v26
	v_cmp_ne_u32_e64 s2, 0, v5
	s_delay_alu instid0(VALU_DEP_1) | instskip(NEXT) | instid1(VALU_DEP_1)
	v_cndmask_b32_e64 v5, 0, 1, s2
	v_and_or_b32 v5, 0xffe, v8, v5
	v_bfe_u32 v8, v26, 20, 11
	s_delay_alu instid0(VALU_DEP_2) | instskip(NEXT) | instid1(VALU_DEP_2)
	v_or_b32_e32 v25, 0x1000, v5
	v_sub_nc_u32_e32 v16, 0x3f1, v8
	v_add_nc_u32_e32 v8, 0xfffffc10, v8
	v_cmp_ne_u32_e64 s4, 0, v5
	s_delay_alu instid0(VALU_DEP_3) | instskip(NEXT) | instid1(VALU_DEP_1)
	v_med3_i32 v16, v16, 0, 13
	v_lshrrev_b32_e32 v28, v16, v25
	s_delay_alu instid0(VALU_DEP_1) | instskip(NEXT) | instid1(VALU_DEP_1)
	v_lshlrev_b32_e32 v16, v16, v28
	v_cmp_ne_u32_e64 s2, v16, v25
	v_lshl_or_b32 v25, v8, 12, v5
	v_cndmask_b32_e64 v5, 0, 1, s1
	s_delay_alu instid0(VALU_DEP_3) | instskip(SKIP_1) | instid1(VALU_DEP_3)
	v_cndmask_b32_e64 v16, 0, 1, s2
	v_cmp_gt_i32_e64 s2, 1, v8
	v_or_b32_e32 v5, v32, v5
	s_delay_alu instid0(VALU_DEP_3) | instskip(NEXT) | instid1(VALU_DEP_1)
	v_or_b32_e32 v16, v28, v16
	v_cndmask_b32_e64 v16, v25, v16, s2
	s_delay_alu instid0(VALU_DEP_1) | instskip(SKIP_1) | instid1(VALU_DEP_2)
	v_and_b32_e32 v25, 7, v16
	v_lshrrev_b32_e32 v16, 2, v16
	v_cmp_lt_i32_e64 s2, 5, v25
	v_cmp_eq_u32_e64 s3, 3, v25
	v_add_nc_u32_e32 v25, 0xfffffc10, v31
	s_delay_alu instid0(VALU_DEP_1) | instskip(SKIP_1) | instid1(VALU_DEP_1)
	v_lshl_or_b32 v28, v25, 12, v30
	v_cmp_gt_i32_e64 s1, 1, v25
	v_cndmask_b32_e64 v5, v28, v5, s1
	s_or_b32 s1, s3, s2
	v_cndmask_b32_e64 v28, 0, 1, s4
	v_add_co_ci_u32_e64 v16, s1, 0, v16, s1
	v_cmp_gt_i32_e64 s1, 31, v8
	v_cmp_ne_u32_e64 s3, 0, v30
	s_delay_alu instid0(VALU_DEP_4) | instskip(NEXT) | instid1(VALU_DEP_3)
	v_lshl_or_b32 v28, v28, 9, 0x7c00
	v_cndmask_b32_e64 v16, 0x7c00, v16, s1
	v_cmp_eq_u32_e64 s1, 0x40f, v8
	s_delay_alu instid0(VALU_DEP_1) | instskip(SKIP_3) | instid1(VALU_DEP_3)
	v_cndmask_b32_e64 v8, v16, v28, s1
	v_lshrrev_b32_e32 v16, 16, v26
	v_and_b32_e32 v26, 7, v5
	v_lshrrev_b32_e32 v5, 2, v5
	v_and_or_b32 v8, 0x8000, v16, v8
	s_delay_alu instid0(VALU_DEP_3) | instskip(SKIP_2) | instid1(VALU_DEP_4)
	v_cmp_lt_i32_e64 s1, 5, v26
	v_cmp_eq_u32_e64 s2, 3, v26
	v_cndmask_b32_e64 v26, 0, 1, s3
	v_and_b32_e32 v8, 0xffff, v8
	s_delay_alu instid0(VALU_DEP_3) | instskip(NEXT) | instid1(VALU_DEP_2)
	s_or_b32 s1, s2, s1
	v_lshl_or_b32 v26, v26, 9, 0x7c00
	v_add_co_ci_u32_e64 v5, s1, 0, v5, s1
	v_cmp_gt_i32_e64 s1, 31, v25
	s_delay_alu instid0(VALU_DEP_1) | instskip(SKIP_1) | instid1(VALU_DEP_1)
	v_cndmask_b32_e64 v5, 0x7c00, v5, s1
	v_cmp_eq_u32_e64 s1, 0x40f, v25
	v_cndmask_b32_e64 v5, v5, v26, s1
	s_delay_alu instid0(VALU_DEP_1) | instskip(SKIP_1) | instid1(VALU_DEP_1)
	v_and_or_b32 v5, 0x8000, v15, v5
	v_add_co_u32 v15, s1, v23, s13
	v_add_co_ci_u32_e64 v16, s1, s12, v24, s1
	s_delay_alu instid0(VALU_DEP_3) | instskip(SKIP_4) | instid1(VALU_DEP_1)
	v_lshl_or_b32 v5, v5, 16, v8
	scratch_load_b32 v8, off, off offset:180 ; 4-byte Folded Reload
	global_store_b32 v[23:24], v5, off
	s_waitcnt vmcnt(0)
	v_mad_u64_u32 v[23:24], null, s8, v8, 0
	v_mov_b32_e32 v5, v24
	s_delay_alu instid0(VALU_DEP_1) | instskip(SKIP_1) | instid1(VALU_DEP_1)
	v_mad_u64_u32 v[24:25], null, s9, v8, v[5:6]
	v_cvt_f32_f16_e32 v5, v27
	v_cvt_f64_f32_e32 v[25:26], v5
	s_delay_alu instid0(VALU_DEP_3) | instskip(NEXT) | instid1(VALU_DEP_1)
	v_lshlrev_b64 v[23:24], 2, v[23:24]
	v_add_co_u32 v23, s2, v20, v23
	s_delay_alu instid0(VALU_DEP_1) | instskip(NEXT) | instid1(VALU_DEP_4)
	v_add_co_ci_u32_e64 v24, s2, v19, v24, s2
	v_mul_f64 v[25:26], v[25:26], s[10:11]
	s_delay_alu instid0(VALU_DEP_1) | instskip(SKIP_1) | instid1(VALU_DEP_2)
	v_and_or_b32 v5, 0x1ff, v26, v25
	v_lshrrev_b32_e32 v8, 8, v26
	v_cmp_ne_u32_e64 s1, 0, v5
	s_delay_alu instid0(VALU_DEP_1) | instskip(NEXT) | instid1(VALU_DEP_1)
	v_cndmask_b32_e64 v5, 0, 1, s1
	v_and_or_b32 v5, 0xffe, v8, v5
	v_bfe_u32 v8, v26, 20, 11
	s_delay_alu instid0(VALU_DEP_2) | instskip(NEXT) | instid1(VALU_DEP_2)
	v_or_b32_e32 v27, 0x1000, v5
	v_sub_nc_u32_e32 v25, 0x3f1, v8
	v_add_nc_u32_e32 v8, 0xfffffc10, v8
	s_delay_alu instid0(VALU_DEP_2) | instskip(NEXT) | instid1(VALU_DEP_1)
	v_med3_i32 v25, v25, 0, 13
	v_lshrrev_b32_e32 v29, v25, v27
	s_delay_alu instid0(VALU_DEP_1) | instskip(NEXT) | instid1(VALU_DEP_1)
	v_lshlrev_b32_e32 v25, v25, v29
	v_cmp_ne_u32_e64 s1, v25, v27
	v_cvt_f64_f32_e32 v[27:28], v2
	s_delay_alu instid0(VALU_DEP_1) | instskip(NEXT) | instid1(VALU_DEP_1)
	v_mul_f64 v[27:28], v[27:28], s[10:11]
	v_and_or_b32 v2, 0x1ff, v28, v27
	v_lshrrev_b32_e32 v17, 8, v28
	s_delay_alu instid0(VALU_DEP_2) | instskip(NEXT) | instid1(VALU_DEP_1)
	v_cmp_ne_u32_e64 s2, 0, v2
	v_cndmask_b32_e64 v2, 0, 1, s2
	s_delay_alu instid0(VALU_DEP_1) | instskip(SKIP_1) | instid1(VALU_DEP_2)
	v_and_or_b32 v2, 0xffe, v17, v2
	v_bfe_u32 v17, v28, 20, 11
	v_or_b32_e32 v27, 0x1000, v2
	s_delay_alu instid0(VALU_DEP_2) | instskip(SKIP_2) | instid1(VALU_DEP_3)
	v_sub_nc_u32_e32 v25, 0x3f1, v17
	v_add_nc_u32_e32 v17, 0xfffffc10, v17
	v_cmp_ne_u32_e64 s3, 0, v2
	v_med3_i32 v25, v25, 0, 13
	s_delay_alu instid0(VALU_DEP_1) | instskip(NEXT) | instid1(VALU_DEP_1)
	v_lshrrev_b32_e32 v30, v25, v27
	v_lshlrev_b32_e32 v25, v25, v30
	s_delay_alu instid0(VALU_DEP_1) | instskip(SKIP_1) | instid1(VALU_DEP_2)
	v_cmp_ne_u32_e64 s2, v25, v27
	v_lshl_or_b32 v27, v17, 12, v2
	v_cndmask_b32_e64 v25, 0, 1, s2
	v_cmp_gt_i32_e64 s2, 1, v17
	s_delay_alu instid0(VALU_DEP_2) | instskip(NEXT) | instid1(VALU_DEP_1)
	v_or_b32_e32 v25, v30, v25
	v_cndmask_b32_e64 v25, v27, v25, s2
	v_cndmask_b32_e64 v27, 0, 1, vcc_lo
	v_cmp_gt_i32_e32 vcc_lo, 1, v21
	s_delay_alu instid0(VALU_DEP_2) | instskip(SKIP_1) | instid1(VALU_DEP_1)
	v_or_b32_e32 v22, v22, v27
	v_lshl_or_b32 v27, v21, 12, v18
	v_dual_cndmask_b32 v22, v27, v22 :: v_dual_and_b32 v27, 7, v25
	s_delay_alu instid0(VALU_DEP_1) | instskip(NEXT) | instid1(VALU_DEP_2)
	v_and_b32_e32 v2, 7, v22
	v_cmp_lt_i32_e32 vcc_lo, 5, v27
	v_cmp_eq_u32_e64 s2, 3, v27
	s_delay_alu instid0(VALU_DEP_3) | instskip(SKIP_2) | instid1(VALU_DEP_4)
	v_cmp_lt_i32_e64 s4, 5, v2
	v_cmp_eq_u32_e64 s5, 3, v2
	v_lshrrev_b32_e32 v2, 2, v25
	s_or_b32 vcc_lo, s2, vcc_lo
	v_cndmask_b32_e64 v25, 0, 1, s3
	s_delay_alu instid0(VALU_DEP_3) | instskip(NEXT) | instid1(VALU_DEP_2)
	s_or_b32 s2, s5, s4
	v_add_co_ci_u32_e32 v2, vcc_lo, 0, v2, vcc_lo
	v_cmp_gt_i32_e32 vcc_lo, 31, v17
	s_delay_alu instid0(VALU_DEP_3) | instskip(NEXT) | instid1(VALU_DEP_3)
	v_lshl_or_b32 v25, v25, 9, 0x7c00
	v_cndmask_b32_e32 v2, 0x7c00, v2, vcc_lo
	v_cmp_eq_u32_e32 vcc_lo, 0x40f, v17
	v_lshrrev_b32_e32 v17, 16, v28
	s_delay_alu instid0(VALU_DEP_3) | instskip(SKIP_2) | instid1(VALU_DEP_3)
	v_cndmask_b32_e32 v2, v2, v25, vcc_lo
	v_cmp_ne_u32_e32 vcc_lo, 0, v18
	v_lshrrev_b32_e32 v18, 2, v22
	v_and_or_b32 v2, 0x8000, v17, v2
	v_cndmask_b32_e64 v22, 0, 1, vcc_lo
	s_delay_alu instid0(VALU_DEP_3) | instskip(SKIP_2) | instid1(VALU_DEP_4)
	v_add_co_ci_u32_e64 v18, s2, 0, v18, s2
	v_cmp_gt_i32_e64 s2, 31, v21
	v_cmp_eq_u32_e32 vcc_lo, 0x40f, v21
	v_lshl_or_b32 v22, v22, 9, 0x7c00
	v_cndmask_b32_e64 v21, 0, 1, s0
	v_and_b32_e32 v2, 0xffff, v2
	v_cndmask_b32_e64 v18, 0x7c00, v18, s2
	v_cmp_gt_i32_e64 s2, 1, v8
	s_delay_alu instid0(VALU_DEP_4) | instskip(NEXT) | instid1(VALU_DEP_3)
	v_or_b32_e32 v21, v34, v21
	v_cndmask_b32_e32 v18, v18, v22, vcc_lo
	v_add_nc_u32_e32 v22, 0xfffffc10, v33
	s_delay_alu instid0(VALU_DEP_2) | instskip(NEXT) | instid1(VALU_DEP_2)
	v_and_or_b32 v14, 0x8000, v14, v18
	v_lshl_or_b32 v25, v22, 12, v12
	v_cmp_gt_i32_e32 vcc_lo, 1, v22
	s_delay_alu instid0(VALU_DEP_3) | instskip(NEXT) | instid1(VALU_DEP_3)
	v_lshl_or_b32 v2, v14, 16, v2
	v_cndmask_b32_e32 v21, v25, v21, vcc_lo
	s_delay_alu instid0(VALU_DEP_1) | instskip(NEXT) | instid1(VALU_DEP_1)
	v_and_b32_e32 v17, 7, v21
	v_cmp_lt_i32_e32 vcc_lo, 5, v17
	v_cmp_eq_u32_e64 s0, 3, v17
	v_cndmask_b32_e64 v17, 0, 1, s1
	v_cmp_ne_u32_e64 s1, 0, v12
	v_lshl_or_b32 v12, v8, 12, v5
	s_delay_alu instid0(VALU_DEP_4) | instskip(NEXT) | instid1(VALU_DEP_3)
	s_or_b32 vcc_lo, s0, vcc_lo
	v_or_b32_e32 v17, v29, v17
	s_delay_alu instid0(VALU_DEP_3) | instskip(SKIP_2) | instid1(VALU_DEP_4)
	v_cndmask_b32_e64 v18, 0, 1, s1
	v_cmp_ne_u32_e64 s1, 0, v5
	v_lshrrev_b32_e32 v5, 16, v6
	v_cndmask_b32_e64 v12, v12, v17, s2
	v_lshrrev_b32_e32 v17, 2, v21
	v_lshl_or_b32 v18, v18, 9, 0x7c00
	s_delay_alu instid0(VALU_DEP_3) | instskip(NEXT) | instid1(VALU_DEP_3)
	v_lshrrev_b32_e32 v6, 2, v12
	v_add_co_ci_u32_e32 v17, vcc_lo, 0, v17, vcc_lo
	v_cmp_gt_i32_e32 vcc_lo, 31, v22
	s_delay_alu instid0(VALU_DEP_2) | instskip(SKIP_1) | instid1(VALU_DEP_2)
	v_cndmask_b32_e32 v17, 0x7c00, v17, vcc_lo
	v_cmp_eq_u32_e32 vcc_lo, 0x40f, v22
	v_dual_cndmask_b32 v17, v17, v18 :: v_dual_and_b32 v18, 7, v12
	v_cndmask_b32_e64 v12, 0, 1, s1
	s_delay_alu instid0(VALU_DEP_2) | instskip(NEXT) | instid1(VALU_DEP_3)
	v_and_or_b32 v5, 0x8000, v5, v17
	v_cmp_lt_i32_e32 vcc_lo, 5, v18
	v_cmp_eq_u32_e64 s0, 3, v18
	s_delay_alu instid0(VALU_DEP_4) | instskip(NEXT) | instid1(VALU_DEP_4)
	v_lshl_or_b32 v12, v12, 9, 0x7c00
	v_and_b32_e32 v5, 0xffff, v5
	s_delay_alu instid0(VALU_DEP_3) | instskip(SKIP_2) | instid1(VALU_DEP_2)
	s_or_b32 vcc_lo, s0, vcc_lo
	v_add_co_ci_u32_e32 v6, vcc_lo, 0, v6, vcc_lo
	v_cmp_gt_i32_e32 vcc_lo, 31, v8
	v_cndmask_b32_e32 v6, 0x7c00, v6, vcc_lo
	v_cmp_eq_u32_e32 vcc_lo, 0x40f, v8
	v_lshrrev_b32_e32 v8, 16, v26
	s_delay_alu instid0(VALU_DEP_3) | instskip(NEXT) | instid1(VALU_DEP_1)
	v_cndmask_b32_e32 v6, v6, v12, vcc_lo
	v_and_or_b32 v6, 0x8000, v8, v6
	s_delay_alu instid0(VALU_DEP_1)
	v_lshl_or_b32 v5, v6, 16, v5
	global_store_b32 v[15:16], v2, off
	global_store_b32 v[23:24], v5, off
	s_clause 0x5
	scratch_load_b32 v5, off, off offset:168
	scratch_load_b32 v25, off, off offset:172
	scratch_load_b32 v30, off, off offset:252
	scratch_load_b32 v6, off, off offset:164
	scratch_load_b32 v41, off, off offset:160
	scratch_load_b32 v40, off, off offset:156
	v_lshrrev_b32_e32 v2, 16, v11
	s_waitcnt vmcnt(5)
	s_delay_alu instid0(VALU_DEP_1) | instskip(SKIP_2) | instid1(VALU_DEP_2)
	v_mul_f16_e32 v8, v5, v2
	v_mul_f16_e32 v5, v5, v11
	s_waitcnt vmcnt(2)
	v_fmac_f16_e32 v8, v6, v11
	s_delay_alu instid0(VALU_DEP_2)
	v_fma_f16 v2, v6, v2, -v5
	ds_load_2addr_b32 v[5:6], v110 offset0:64 offset1:160
	v_cvt_f32_f16_e32 v8, v8
	v_cvt_f32_f16_e32 v2, v2
	s_waitcnt lgkmcnt(0)
	v_lshrrev_b32_e32 v29, 16, v6
	s_waitcnt vmcnt(1)
	v_mul_f16_e32 v11, v41, v6
	s_waitcnt vmcnt(0)
	s_delay_alu instid0(VALU_DEP_1) | instskip(SKIP_1) | instid1(VALU_DEP_2)
	v_fma_f16 v11, v40, v29, -v11
	v_mul_f16_e32 v29, v41, v29
	v_cvt_f32_f16_e32 v11, v11
	s_delay_alu instid0(VALU_DEP_2) | instskip(NEXT) | instid1(VALU_DEP_2)
	v_fmac_f16_e32 v29, v40, v6
	v_cvt_f64_f32_e32 v[11:12], v11
	s_delay_alu instid0(VALU_DEP_2) | instskip(NEXT) | instid1(VALU_DEP_2)
	v_cvt_f32_f16_e32 v6, v29
	v_mul_f64 v[17:18], v[11:12], s[10:11]
	s_delay_alu instid0(VALU_DEP_1)
	v_and_or_b32 v11, 0x1ff, v18, v17
	scratch_load_b32 v17, off, off offset:176 ; 4-byte Folded Reload
	v_lshrrev_b32_e32 v12, 8, v18
	v_bfe_u32 v32, v18, 20, 11
	v_lshrrev_b32_e32 v18, 16, v18
	v_cmp_ne_u32_e32 vcc_lo, 0, v11
	v_cndmask_b32_e64 v11, 0, 1, vcc_lo
	s_delay_alu instid0(VALU_DEP_1) | instskip(SKIP_2) | instid1(VALU_DEP_3)
	v_and_or_b32 v31, 0xffe, v12, v11
	v_sub_nc_u32_e32 v11, 0x3f1, v32
	v_add_nc_u32_e32 v32, 0xfffffc10, v32
	v_or_b32_e32 v12, 0x1000, v31
	s_delay_alu instid0(VALU_DEP_3) | instskip(NEXT) | instid1(VALU_DEP_1)
	v_med3_i32 v11, v11, 0, 13
	v_lshrrev_b32_e32 v33, v11, v12
	s_delay_alu instid0(VALU_DEP_1) | instskip(NEXT) | instid1(VALU_DEP_1)
	v_lshlrev_b32_e32 v11, v11, v33
	v_cmp_ne_u32_e64 s2, v11, v12
	v_cvt_f64_f32_e32 v[11:12], v8
	s_delay_alu instid0(VALU_DEP_1) | instskip(NEXT) | instid1(VALU_DEP_1)
	v_mul_f64 v[21:22], v[11:12], s[10:11]
	v_and_or_b32 v8, 0x1ff, v22, v21
	v_lshrrev_b32_e32 v11, 8, v22
	v_bfe_u32 v21, v22, 20, 11
	v_lshrrev_b32_e32 v22, 16, v22
	s_delay_alu instid0(VALU_DEP_4) | instskip(SKIP_1) | instid1(VALU_DEP_1)
	v_cmp_ne_u32_e32 vcc_lo, 0, v8
	v_cndmask_b32_e64 v8, 0, 1, vcc_lo
	v_and_or_b32 v8, 0xffe, v11, v8
	v_sub_nc_u32_e32 v11, 0x3f1, v21
	v_add_nc_u32_e32 v21, 0xfffffc10, v21
	s_delay_alu instid0(VALU_DEP_3) | instskip(NEXT) | instid1(VALU_DEP_3)
	v_or_b32_e32 v12, 0x1000, v8
	v_med3_i32 v11, v11, 0, 13
	s_delay_alu instid0(VALU_DEP_1) | instskip(NEXT) | instid1(VALU_DEP_1)
	v_lshrrev_b32_e32 v34, v11, v12
	v_lshlrev_b32_e32 v11, v11, v34
	s_delay_alu instid0(VALU_DEP_1) | instskip(SKIP_1) | instid1(VALU_DEP_1)
	v_cmp_ne_u32_e64 s1, v11, v12
	v_cvt_f64_f32_e32 v[11:12], v2
	v_mul_f64 v[23:24], v[11:12], s[10:11]
	s_delay_alu instid0(VALU_DEP_1) | instskip(SKIP_2) | instid1(VALU_DEP_3)
	v_and_or_b32 v2, 0x1ff, v24, v23
	v_lshrrev_b32_e32 v11, 8, v24
	v_bfe_u32 v35, v24, 20, 11
	v_cmp_ne_u32_e32 vcc_lo, 0, v2
	v_cndmask_b32_e64 v2, 0, 1, vcc_lo
	v_add_co_u32 v14, vcc_lo, v15, s15
	v_add_co_ci_u32_e32 v15, vcc_lo, s14, v16, vcc_lo
	s_delay_alu instid0(VALU_DEP_3) | instskip(SKIP_1) | instid1(VALU_DEP_2)
	v_and_or_b32 v23, 0xffe, v11, v2
	v_sub_nc_u32_e32 v2, 0x3f1, v35
	v_or_b32_e32 v11, 0x1000, v23
	s_delay_alu instid0(VALU_DEP_2) | instskip(NEXT) | instid1(VALU_DEP_1)
	v_med3_i32 v2, v2, 0, 13
	v_lshrrev_b32_e32 v36, v2, v11
	s_delay_alu instid0(VALU_DEP_1) | instskip(NEXT) | instid1(VALU_DEP_1)
	v_lshlrev_b32_e32 v2, v2, v36
	v_cmp_ne_u32_e64 s0, v2, v11
	ds_load_2addr_b32 v[11:12], v107 offset0:128 offset1:224
	s_waitcnt lgkmcnt(0)
	v_lshrrev_b32_e32 v2, 16, v11
	s_waitcnt vmcnt(0)
	v_mul_f16_e32 v16, v17, v11
	s_delay_alu instid0(VALU_DEP_2) | instskip(NEXT) | instid1(VALU_DEP_2)
	v_mul_f16_e32 v17, v17, v2
	v_fma_f16 v28, v25, v2, -v16
	s_delay_alu instid0(VALU_DEP_2) | instskip(NEXT) | instid1(VALU_DEP_1)
	v_fmac_f16_e32 v17, v25, v11
	v_cvt_f32_f16_e32 v2, v17
	s_delay_alu instid0(VALU_DEP_1) | instskip(NEXT) | instid1(VALU_DEP_1)
	v_cvt_f64_f32_e32 v[16:17], v2
	v_mul_f64 v[16:17], v[16:17], s[10:11]
	s_delay_alu instid0(VALU_DEP_1) | instskip(SKIP_3) | instid1(VALU_DEP_4)
	v_and_or_b32 v2, 0x1ff, v17, v16
	v_lshrrev_b32_e32 v11, 8, v17
	v_bfe_u32 v16, v17, 20, 11
	v_lshrrev_b32_e32 v17, 16, v17
	v_cmp_ne_u32_e32 vcc_lo, 0, v2
	v_cndmask_b32_e64 v2, 0, 1, vcc_lo
	s_delay_alu instid0(VALU_DEP_1) | instskip(SKIP_2) | instid1(VALU_DEP_3)
	v_and_or_b32 v11, 0xffe, v11, v2
	v_sub_nc_u32_e32 v2, 0x3f1, v16
	v_add_nc_u32_e32 v16, 0xfffffc10, v16
	v_or_b32_e32 v25, 0x1000, v11
	s_delay_alu instid0(VALU_DEP_3) | instskip(NEXT) | instid1(VALU_DEP_1)
	v_med3_i32 v2, v2, 0, 13
	v_lshrrev_b32_e32 v37, v2, v25
	s_delay_alu instid0(VALU_DEP_1) | instskip(NEXT) | instid1(VALU_DEP_1)
	v_lshlrev_b32_e32 v2, v2, v37
	v_cmp_ne_u32_e32 vcc_lo, v2, v25
	v_mad_u64_u32 v[25:26], null, s8, v30, 0
	s_delay_alu instid0(VALU_DEP_1) | instskip(NEXT) | instid1(VALU_DEP_1)
	v_mov_b32_e32 v2, v26
	v_mad_u64_u32 v[26:27], null, s9, v30, v[2:3]
	v_cvt_f32_f16_e32 v2, v28
	s_delay_alu instid0(VALU_DEP_1) | instskip(NEXT) | instid1(VALU_DEP_3)
	v_cvt_f64_f32_e32 v[27:28], v2
	v_lshlrev_b64 v[25:26], 2, v[25:26]
	s_delay_alu instid0(VALU_DEP_1) | instskip(NEXT) | instid1(VALU_DEP_1)
	v_add_co_u32 v25, s4, v20, v25
	v_add_co_ci_u32_e64 v26, s4, v19, v26, s4
	s_delay_alu instid0(VALU_DEP_4) | instskip(NEXT) | instid1(VALU_DEP_1)
	v_mul_f64 v[27:28], v[27:28], s[10:11]
	v_and_or_b32 v2, 0x1ff, v28, v27
	v_lshrrev_b32_e32 v27, 8, v28
	s_delay_alu instid0(VALU_DEP_2) | instskip(NEXT) | instid1(VALU_DEP_1)
	v_cmp_ne_u32_e64 s3, 0, v2
	v_cndmask_b32_e64 v2, 0, 1, s3
	s_delay_alu instid0(VALU_DEP_1) | instskip(SKIP_1) | instid1(VALU_DEP_2)
	v_and_or_b32 v2, 0xffe, v27, v2
	v_bfe_u32 v27, v28, 20, 11
	v_or_b32_e32 v38, 0x1000, v2
	s_delay_alu instid0(VALU_DEP_2) | instskip(NEXT) | instid1(VALU_DEP_1)
	v_sub_nc_u32_e32 v30, 0x3f1, v27
	v_med3_i32 v30, v30, 0, 13
	s_delay_alu instid0(VALU_DEP_1) | instskip(NEXT) | instid1(VALU_DEP_1)
	v_lshrrev_b32_e32 v39, v30, v38
	v_lshlrev_b32_e32 v30, v30, v39
	s_delay_alu instid0(VALU_DEP_1) | instskip(SKIP_1) | instid1(VALU_DEP_1)
	v_cmp_ne_u32_e64 s3, v30, v38
	v_cvt_f64_f32_e32 v[29:30], v6
	v_mul_f64 v[29:30], v[29:30], s[10:11]
	s_delay_alu instid0(VALU_DEP_1) | instskip(SKIP_1) | instid1(VALU_DEP_2)
	v_and_or_b32 v6, 0x1ff, v30, v29
	v_lshrrev_b32_e32 v29, 8, v30
	v_cmp_ne_u32_e64 s4, 0, v6
	s_delay_alu instid0(VALU_DEP_1) | instskip(NEXT) | instid1(VALU_DEP_1)
	v_cndmask_b32_e64 v6, 0, 1, s4
	v_and_or_b32 v6, 0xffe, v29, v6
	v_bfe_u32 v29, v30, 20, 11
	v_lshrrev_b32_e32 v30, 16, v30
	s_delay_alu instid0(VALU_DEP_3) | instskip(NEXT) | instid1(VALU_DEP_3)
	v_or_b32_e32 v40, 0x1000, v6
	v_sub_nc_u32_e32 v38, 0x3f1, v29
	v_add_nc_u32_e32 v29, 0xfffffc10, v29
	v_cmp_ne_u32_e64 s6, 0, v6
	s_delay_alu instid0(VALU_DEP_3) | instskip(NEXT) | instid1(VALU_DEP_1)
	v_med3_i32 v38, v38, 0, 13
	v_lshrrev_b32_e32 v41, v38, v40
	s_delay_alu instid0(VALU_DEP_1) | instskip(NEXT) | instid1(VALU_DEP_1)
	v_lshlrev_b32_e32 v38, v38, v41
	v_cmp_ne_u32_e64 s4, v38, v40
	v_lshl_or_b32 v40, v29, 12, v6
	v_cndmask_b32_e64 v6, 0, 1, s2
	v_cmp_gt_i32_e64 s2, 1, v32
	s_delay_alu instid0(VALU_DEP_4) | instskip(SKIP_1) | instid1(VALU_DEP_4)
	v_cndmask_b32_e64 v38, 0, 1, s4
	v_cmp_gt_i32_e64 s4, 1, v29
	v_or_b32_e32 v6, v33, v6
	v_lshl_or_b32 v33, v32, 12, v31
	s_delay_alu instid0(VALU_DEP_4) | instskip(NEXT) | instid1(VALU_DEP_2)
	v_or_b32_e32 v38, v41, v38
	v_cndmask_b32_e64 v6, v33, v6, s2
	s_delay_alu instid0(VALU_DEP_2) | instskip(NEXT) | instid1(VALU_DEP_1)
	v_cndmask_b32_e64 v38, v40, v38, s4
	v_and_b32_e32 v40, 7, v38
	v_lshrrev_b32_e32 v33, 2, v38
	v_cndmask_b32_e64 v38, 0, 1, s6
	s_delay_alu instid0(VALU_DEP_3) | instskip(SKIP_1) | instid1(VALU_DEP_3)
	v_cmp_lt_i32_e64 s4, 5, v40
	v_cmp_eq_u32_e64 s5, 3, v40
	v_lshl_or_b32 v38, v38, 9, 0x7c00
	s_delay_alu instid0(VALU_DEP_2) | instskip(SKIP_4) | instid1(VALU_DEP_2)
	s_or_b32 s2, s5, s4
	v_cmp_ne_u32_e64 s5, 0, v31
	v_add_co_ci_u32_e64 v33, s2, 0, v33, s2
	v_cmp_gt_i32_e64 s2, 31, v29
	v_cndmask_b32_e64 v31, 0, 1, s1
	v_cndmask_b32_e64 v33, 0x7c00, v33, s2
	v_cmp_eq_u32_e64 s2, 0x40f, v29
	s_delay_alu instid0(VALU_DEP_3) | instskip(NEXT) | instid1(VALU_DEP_2)
	v_or_b32_e32 v31, v34, v31
	v_cndmask_b32_e64 v29, v33, v38, s2
	v_and_b32_e32 v33, 7, v6
	v_lshrrev_b32_e32 v6, 2, v6
	s_delay_alu instid0(VALU_DEP_3) | instskip(NEXT) | instid1(VALU_DEP_3)
	v_and_or_b32 v29, 0x8000, v30, v29
	v_cmp_lt_i32_e64 s2, 5, v33
	v_cmp_eq_u32_e64 s4, 3, v33
	v_cndmask_b32_e64 v33, 0, 1, s5
	s_delay_alu instid0(VALU_DEP_2) | instskip(NEXT) | instid1(VALU_DEP_1)
	s_or_b32 s1, s4, s2
	v_lshl_or_b32 v33, v33, 9, 0x7c00
	v_add_co_ci_u32_e64 v6, s1, 0, v6, s1
	v_cmp_gt_i32_e64 s1, 31, v32
	s_delay_alu instid0(VALU_DEP_1) | instskip(SKIP_2) | instid1(VALU_DEP_2)
	v_cndmask_b32_e64 v6, 0x7c00, v6, s1
	v_cmp_eq_u32_e64 s1, 0x40f, v32
	v_lshl_or_b32 v32, v21, 12, v8
	v_cndmask_b32_e64 v6, v6, v33, s1
	v_cmp_gt_i32_e64 s1, 1, v21
	s_delay_alu instid0(VALU_DEP_2) | instskip(NEXT) | instid1(VALU_DEP_2)
	v_and_or_b32 v6, 0x8000, v18, v6
	v_cndmask_b32_e64 v31, v32, v31, s1
	s_delay_alu instid0(VALU_DEP_1) | instskip(NEXT) | instid1(VALU_DEP_1)
	v_and_b32_e32 v18, 7, v31
	v_cmp_lt_i32_e64 s1, 5, v18
	v_cmp_eq_u32_e64 s2, 3, v18
	v_cndmask_b32_e64 v18, 0, 1, s0
	v_cmp_ne_u32_e64 s0, 0, v8
	v_add_nc_u32_e32 v8, 0xfffffc10, v35
	s_delay_alu instid0(VALU_DEP_4) | instskip(NEXT) | instid1(VALU_DEP_3)
	s_or_b32 s1, s2, s1
	v_or_b32_e32 v18, v36, v18
	v_cmp_ne_u32_e64 s2, 0, v23
	s_delay_alu instid0(VALU_DEP_3) | instskip(SKIP_1) | instid1(VALU_DEP_3)
	v_lshl_or_b32 v30, v8, 12, v23
	v_cmp_gt_i32_e64 s4, 1, v8
	v_cndmask_b32_e64 v23, 0, 1, s2
	s_delay_alu instid0(VALU_DEP_2) | instskip(SKIP_4) | instid1(VALU_DEP_4)
	v_cndmask_b32_e64 v18, v30, v18, s4
	v_lshrrev_b32_e32 v30, 2, v31
	v_cndmask_b32_e64 v31, 0, 1, s0
	v_cmp_eq_u32_e64 s0, 0x40f, v21
	v_lshl_or_b32 v23, v23, 9, 0x7c00
	v_add_co_ci_u32_e64 v30, s1, 0, v30, s1
	v_cmp_gt_i32_e64 s1, 31, v21
	v_lshl_or_b32 v31, v31, 9, 0x7c00
	s_delay_alu instid0(VALU_DEP_2) | instskip(NEXT) | instid1(VALU_DEP_1)
	v_cndmask_b32_e64 v30, 0x7c00, v30, s1
	v_cndmask_b32_e64 v21, v30, v31, s0
	v_and_b32_e32 v30, 7, v18
	v_lshrrev_b32_e32 v18, 2, v18
	s_delay_alu instid0(VALU_DEP_3) | instskip(NEXT) | instid1(VALU_DEP_3)
	v_and_or_b32 v21, 0x8000, v22, v21
	v_cmp_lt_i32_e64 s0, 5, v30
	v_cmp_eq_u32_e64 s1, 3, v30
	s_delay_alu instid0(VALU_DEP_1) | instskip(SKIP_3) | instid1(VALU_DEP_1)
	s_or_b32 s0, s1, s0
	v_cmp_ne_u32_e64 s1, 0, v11
	v_add_co_ci_u32_e64 v18, s0, 0, v18, s0
	v_cmp_gt_i32_e64 s0, 31, v8
	v_cndmask_b32_e64 v18, 0x7c00, v18, s0
	v_cmp_eq_u32_e64 s0, 0x40f, v8
	s_delay_alu instid0(VALU_DEP_1)
	v_cndmask_b32_e64 v8, v18, v23, s0
	v_cndmask_b32_e64 v23, 0, 1, vcc_lo
	v_lshrrev_b32_e32 v18, 16, v24
	v_lshl_or_b32 v24, v16, 12, v11
	v_cmp_gt_i32_e32 vcc_lo, 1, v16
	v_add_nc_u32_e32 v11, 0xfffffc10, v27
	v_or_b32_e32 v23, v37, v23
	v_and_or_b32 v8, 0x8000, v18, v8
	s_delay_alu instid0(VALU_DEP_3) | instskip(NEXT) | instid1(VALU_DEP_3)
	v_lshl_or_b32 v22, v11, 12, v2
	v_cndmask_b32_e32 v23, v24, v23, vcc_lo
	v_cmp_gt_i32_e64 s2, 1, v11
	v_and_b32_e32 v24, 0xffff, v29
	s_delay_alu instid0(VALU_DEP_3) | instskip(NEXT) | instid1(VALU_DEP_2)
	v_and_b32_e32 v18, 7, v23
	v_lshl_or_b32 v6, v6, 16, v24
	s_delay_alu instid0(VALU_DEP_2)
	v_cmp_lt_i32_e32 vcc_lo, 5, v18
	v_cmp_eq_u32_e64 s0, 3, v18
	v_cndmask_b32_e64 v18, 0, 1, s3
	global_store_b32 v[14:15], v6, off
	s_or_b32 vcc_lo, s0, vcc_lo
	v_or_b32_e32 v18, v39, v18
	s_delay_alu instid0(VALU_DEP_1) | instskip(SKIP_3) | instid1(VALU_DEP_4)
	v_cndmask_b32_e64 v18, v22, v18, s2
	v_lshrrev_b32_e32 v22, 2, v23
	v_cndmask_b32_e64 v23, 0, 1, s1
	v_cmp_ne_u32_e64 s1, 0, v2
	v_lshrrev_b32_e32 v2, 2, v18
	s_delay_alu instid0(VALU_DEP_4) | instskip(SKIP_2) | instid1(VALU_DEP_3)
	v_add_co_ci_u32_e32 v22, vcc_lo, 0, v22, vcc_lo
	v_cmp_gt_i32_e32 vcc_lo, 31, v16
	v_lshl_or_b32 v23, v23, 9, 0x7c00
	v_cndmask_b32_e32 v22, 0x7c00, v22, vcc_lo
	v_cmp_eq_u32_e32 vcc_lo, 0x40f, v16
	s_delay_alu instid0(VALU_DEP_2) | instskip(SKIP_1) | instid1(VALU_DEP_2)
	v_cndmask_b32_e32 v16, v22, v23, vcc_lo
	v_and_b32_e32 v22, 7, v18
	v_and_or_b32 v16, 0x8000, v17, v16
	s_delay_alu instid0(VALU_DEP_2) | instskip(SKIP_2) | instid1(VALU_DEP_4)
	v_cmp_lt_i32_e32 vcc_lo, 5, v22
	v_cmp_eq_u32_e64 s0, 3, v22
	v_cndmask_b32_e64 v17, 0, 1, s1
	v_and_b32_e32 v6, 0xffff, v16
	s_delay_alu instid0(VALU_DEP_3) | instskip(NEXT) | instid1(VALU_DEP_2)
	s_or_b32 vcc_lo, s0, vcc_lo
	v_lshl_or_b32 v17, v17, 9, 0x7c00
	v_add_co_ci_u32_e32 v2, vcc_lo, 0, v2, vcc_lo
	v_cmp_gt_i32_e32 vcc_lo, 31, v11
	s_mul_i32 s0, s9, 0xffffd900
	s_delay_alu instid0(SALU_CYCLE_1) | instskip(NEXT) | instid1(VALU_DEP_2)
	s_sub_i32 s0, s0, s8
	v_cndmask_b32_e32 v2, 0x7c00, v2, vcc_lo
	v_cmp_eq_u32_e32 vcc_lo, 0x40f, v11
	v_lshrrev_b32_e32 v11, 16, v28
	s_delay_alu instid0(VALU_DEP_3) | instskip(SKIP_1) | instid1(VALU_DEP_2)
	v_cndmask_b32_e32 v2, v2, v17, vcc_lo
	v_and_b32_e32 v17, 0xffff, v21
	v_and_or_b32 v2, 0x8000, v11, v2
	s_delay_alu instid0(VALU_DEP_2) | instskip(SKIP_1) | instid1(VALU_DEP_3)
	v_lshl_or_b32 v8, v8, 16, v17
	v_mad_u64_u32 v[16:17], null, 0xffffd900, s8, v[14:15]
	v_lshl_or_b32 v2, v2, 16, v6
	s_delay_alu instid0(VALU_DEP_2)
	v_add_nc_u32_e32 v17, s0, v17
	global_store_b32 v[16:17], v8, off
	global_store_b32 v[25:26], v2, off
	s_clause 0x5
	scratch_load_b32 v6, off, off offset:136
	scratch_load_b32 v38, off, off offset:140
	;; [unrolled: 1-line block ×6, first 2 shown]
	v_lshrrev_b32_e32 v2, 16, v7
	v_add_co_u32 v16, s1, v16, s15
	s_delay_alu instid0(VALU_DEP_1) | instskip(SKIP_1) | instid1(VALU_DEP_3)
	v_add_co_ci_u32_e64 v17, s1, s14, v17, s1
	s_waitcnt vmcnt(5)
	v_mul_f16_e32 v8, v6, v2
	v_mul_f16_e32 v6, v6, v7
	s_waitcnt vmcnt(3)
	s_delay_alu instid0(VALU_DEP_2) | instskip(NEXT) | instid1(VALU_DEP_2)
	v_fmac_f16_e32 v8, v11, v7
	v_fma_f16 v2, v11, v2, -v6
	s_delay_alu instid0(VALU_DEP_2) | instskip(NEXT) | instid1(VALU_DEP_2)
	v_cvt_f32_f16_e32 v8, v8
	v_cvt_f32_f16_e32 v2, v2
	s_delay_alu instid0(VALU_DEP_1) | instskip(NEXT) | instid1(VALU_DEP_1)
	v_cvt_f64_f32_e32 v[6:7], v2
	v_mul_f64 v[6:7], v[6:7], s[10:11]
	s_delay_alu instid0(VALU_DEP_1) | instskip(SKIP_3) | instid1(VALU_DEP_4)
	v_and_or_b32 v2, 0x1ff, v7, v6
	v_lshrrev_b32_e32 v6, 8, v7
	v_bfe_u32 v25, v7, 20, 11
	v_lshrrev_b32_e32 v7, 16, v7
	v_cmp_ne_u32_e32 vcc_lo, 0, v2
	v_cndmask_b32_e64 v2, 0, 1, vcc_lo
	s_delay_alu instid0(VALU_DEP_1) | instskip(SKIP_2) | instid1(VALU_DEP_3)
	v_and_or_b32 v6, 0xffe, v6, v2
	v_sub_nc_u32_e32 v2, 0x3f1, v25
	v_add_nc_u32_e32 v25, 0xfffffc10, v25
	v_or_b32_e32 v11, 0x1000, v6
	s_delay_alu instid0(VALU_DEP_3) | instskip(NEXT) | instid1(VALU_DEP_1)
	v_med3_i32 v2, v2, 0, 13
	v_lshrrev_b32_e32 v26, v2, v11
	s_delay_alu instid0(VALU_DEP_1) | instskip(NEXT) | instid1(VALU_DEP_1)
	v_lshlrev_b32_e32 v2, v2, v26
	v_cmp_ne_u32_e64 s0, v2, v11
	v_lshrrev_b32_e32 v11, 16, v10
	s_waitcnt vmcnt(2)
	s_delay_alu instid0(VALU_DEP_1) | instskip(SKIP_2) | instid1(VALU_DEP_2)
	v_mul_f16_e32 v2, v14, v11
	v_mul_f16_e32 v14, v14, v10
	s_waitcnt vmcnt(1)
	v_fmac_f16_e32 v2, v15, v10
	s_delay_alu instid0(VALU_DEP_2)
	v_fma_f16 v27, v15, v11, -v14
	ds_load_2addr_b32 v[10:11], v98 offset0:64 offset1:160
	v_cvt_f32_f16_e32 v2, v2
	s_waitcnt lgkmcnt(0)
	v_lshrrev_b32_e32 v22, 16, v10
	s_waitcnt vmcnt(0)
	v_mul_f16_e32 v14, v39, v10
	s_delay_alu instid0(VALU_DEP_1) | instskip(NEXT) | instid1(VALU_DEP_1)
	v_fma_f16 v14, v38, v22, -v14
	v_cvt_f32_f16_e32 v14, v14
	s_delay_alu instid0(VALU_DEP_1) | instskip(NEXT) | instid1(VALU_DEP_1)
	v_cvt_f64_f32_e32 v[14:15], v14
	v_mul_f64 v[14:15], v[14:15], s[10:11]
	s_delay_alu instid0(VALU_DEP_1) | instskip(SKIP_1) | instid1(VALU_DEP_2)
	v_and_or_b32 v14, 0x1ff, v15, v14
	v_lshrrev_b32_e32 v18, 8, v15
	v_cmp_ne_u32_e32 vcc_lo, 0, v14
	v_cndmask_b32_e64 v14, 0, 1, vcc_lo
	s_delay_alu instid0(VALU_DEP_1) | instskip(SKIP_1) | instid1(VALU_DEP_2)
	v_and_or_b32 v14, 0xffe, v18, v14
	v_bfe_u32 v18, v15, 20, 11
	v_or_b32_e32 v24, 0x1000, v14
	s_delay_alu instid0(VALU_DEP_2) | instskip(SKIP_1) | instid1(VALU_DEP_2)
	v_sub_nc_u32_e32 v21, 0x3f1, v18
	v_add_nc_u32_e32 v18, 0xfffffc10, v18
	v_med3_i32 v23, v21, 0, 13
	s_delay_alu instid0(VALU_DEP_1) | instskip(NEXT) | instid1(VALU_DEP_1)
	v_lshrrev_b32_e32 v21, v23, v24
	v_lshlrev_b32_e32 v23, v23, v21
	s_delay_alu instid0(VALU_DEP_1) | instskip(SKIP_1) | instid1(VALU_DEP_1)
	v_cmp_ne_u32_e32 vcc_lo, v23, v24
	v_cvt_f64_f32_e32 v[23:24], v8
	v_mul_f64 v[23:24], v[23:24], s[10:11]
	s_delay_alu instid0(VALU_DEP_1) | instskip(SKIP_1) | instid1(VALU_DEP_2)
	v_and_or_b32 v8, 0x1ff, v24, v23
	v_lshrrev_b32_e32 v23, 8, v24
	v_cmp_ne_u32_e64 s1, 0, v8
	s_delay_alu instid0(VALU_DEP_1) | instskip(NEXT) | instid1(VALU_DEP_1)
	v_cndmask_b32_e64 v8, 0, 1, s1
	v_and_or_b32 v8, 0xffe, v23, v8
	v_bfe_u32 v23, v24, 20, 11
	v_lshrrev_b32_e32 v24, 16, v24
	s_delay_alu instid0(VALU_DEP_3) | instskip(NEXT) | instid1(VALU_DEP_3)
	v_or_b32_e32 v29, 0x1000, v8
	v_sub_nc_u32_e32 v28, 0x3f1, v23
	v_add_nc_u32_e32 v23, 0xfffffc10, v23
	v_cmp_ne_u32_e64 s3, 0, v8
	s_delay_alu instid0(VALU_DEP_3) | instskip(NEXT) | instid1(VALU_DEP_1)
	v_med3_i32 v28, v28, 0, 13
	v_lshrrev_b32_e32 v30, v28, v29
	s_delay_alu instid0(VALU_DEP_1) | instskip(NEXT) | instid1(VALU_DEP_1)
	v_lshlrev_b32_e32 v28, v28, v30
	v_cmp_ne_u32_e64 s1, v28, v29
	v_lshl_or_b32 v29, v23, 12, v8
	v_cndmask_b32_e64 v8, 0, 1, s0
	v_cmp_gt_i32_e64 s0, 1, v25
	s_delay_alu instid0(VALU_DEP_4) | instskip(SKIP_1) | instid1(VALU_DEP_4)
	v_cndmask_b32_e64 v28, 0, 1, s1
	v_cmp_gt_i32_e64 s1, 1, v23
	v_or_b32_e32 v8, v26, v8
	v_lshl_or_b32 v26, v25, 12, v6
	s_delay_alu instid0(VALU_DEP_4) | instskip(SKIP_3) | instid1(VALU_DEP_1)
	v_or_b32_e32 v28, v30, v28
	scratch_load_b32 v30, off, off offset:120 ; 4-byte Folded Reload
	v_cndmask_b32_e64 v8, v26, v8, s0
	v_cndmask_b32_e64 v28, v29, v28, s1
	v_and_b32_e32 v29, 7, v28
	v_lshrrev_b32_e32 v26, 2, v28
	v_cndmask_b32_e64 v28, 0, 1, s3
	s_delay_alu instid0(VALU_DEP_3) | instskip(SKIP_1) | instid1(VALU_DEP_3)
	v_cmp_lt_i32_e64 s1, 5, v29
	v_cmp_eq_u32_e64 s2, 3, v29
	v_lshl_or_b32 v28, v28, 9, 0x7c00
	s_delay_alu instid0(VALU_DEP_2) | instskip(SKIP_4) | instid1(VALU_DEP_2)
	s_or_b32 s0, s2, s1
	v_cmp_ne_u32_e64 s2, 0, v6
	v_add_co_ci_u32_e64 v26, s0, 0, v26, s0
	v_cmp_gt_i32_e64 s0, 31, v23
	v_lshrrev_b32_e32 v6, 2, v8
	v_cndmask_b32_e64 v26, 0x7c00, v26, s0
	v_cmp_eq_u32_e64 s0, 0x40f, v23
	s_delay_alu instid0(VALU_DEP_1) | instskip(SKIP_2) | instid1(VALU_DEP_2)
	v_cndmask_b32_e64 v23, v26, v28, s0
	v_and_b32_e32 v26, 7, v8
	v_cndmask_b32_e64 v8, 0, 1, s2
	v_cmp_lt_i32_e64 s0, 5, v26
	v_cmp_eq_u32_e64 s1, 3, v26
	s_delay_alu instid0(VALU_DEP_3) | instskip(NEXT) | instid1(VALU_DEP_2)
	v_lshl_or_b32 v8, v8, 9, 0x7c00
	s_or_b32 s0, s1, s0
	s_delay_alu instid0(SALU_CYCLE_1) | instskip(SKIP_1) | instid1(VALU_DEP_1)
	v_add_co_ci_u32_e64 v6, s0, 0, v6, s0
	v_cmp_gt_i32_e64 s0, 31, v25
	v_cndmask_b32_e64 v6, 0x7c00, v6, s0
	v_cmp_eq_u32_e64 s0, 0x40f, v25
	s_delay_alu instid0(VALU_DEP_1) | instskip(SKIP_2) | instid1(VALU_DEP_1)
	v_cndmask_b32_e64 v6, v6, v8, s0
	v_and_or_b32 v8, 0x8000, v24, v23
	v_add_co_u32 v23, s0, v16, s13
	v_add_co_ci_u32_e64 v24, s0, s12, v17, s0
	s_delay_alu instid0(VALU_DEP_4) | instskip(NEXT) | instid1(VALU_DEP_4)
	v_and_or_b32 v6, 0x8000, v7, v6
	v_and_b32_e32 v7, 0xffff, v8
	s_delay_alu instid0(VALU_DEP_1)
	v_lshl_or_b32 v6, v6, 16, v7
	global_store_b32 v[16:17], v6, off
	scratch_load_b32 v17, off, off offset:128 ; 4-byte Folded Reload
	v_cvt_f32_f16_e32 v6, v27
	scratch_load_b32 v27, off, off offset:124 ; 4-byte Folded Reload
	v_cvt_f64_f32_e32 v[6:7], v6
	s_delay_alu instid0(VALU_DEP_1) | instskip(NEXT) | instid1(VALU_DEP_1)
	v_mul_f64 v[25:26], v[6:7], s[10:11]
	v_and_or_b32 v6, 0x1ff, v26, v25
	v_lshrrev_b32_e32 v7, 8, v26
	v_bfe_u32 v31, v26, 20, 11
	s_delay_alu instid0(VALU_DEP_3) | instskip(NEXT) | instid1(VALU_DEP_1)
	v_cmp_ne_u32_e64 s0, 0, v6
	v_cndmask_b32_e64 v6, 0, 1, s0
	s_delay_alu instid0(VALU_DEP_1) | instskip(NEXT) | instid1(VALU_DEP_4)
	v_and_or_b32 v25, 0xffe, v7, v6
	v_sub_nc_u32_e32 v6, 0x3f1, v31
	s_delay_alu instid0(VALU_DEP_2) | instskip(NEXT) | instid1(VALU_DEP_2)
	v_or_b32_e32 v7, 0x1000, v25
	v_med3_i32 v6, v6, 0, 13
	s_delay_alu instid0(VALU_DEP_1) | instskip(NEXT) | instid1(VALU_DEP_1)
	v_lshrrev_b32_e32 v32, v6, v7
	v_lshlrev_b32_e32 v6, v6, v32
	s_delay_alu instid0(VALU_DEP_1)
	v_cmp_ne_u32_e64 s2, v6, v7
	ds_load_2addr_b32 v[7:8], v95 offset1:96
	s_waitcnt lgkmcnt(0)
	v_lshrrev_b32_e32 v6, 16, v7
	s_waitcnt vmcnt(1)
	v_mul_f16_e32 v16, v17, v7
	s_delay_alu instid0(VALU_DEP_2) | instskip(SKIP_1) | instid1(VALU_DEP_2)
	v_mul_f16_e32 v17, v17, v6
	s_waitcnt vmcnt(0)
	v_fma_f16 v16, v27, v6, -v16
	s_delay_alu instid0(VALU_DEP_2) | instskip(NEXT) | instid1(VALU_DEP_1)
	v_fmac_f16_e32 v17, v27, v7
	v_cvt_f32_f16_e32 v6, v17
	s_delay_alu instid0(VALU_DEP_1) | instskip(NEXT) | instid1(VALU_DEP_1)
	v_cvt_f64_f32_e32 v[6:7], v6
	v_mul_f64 v[6:7], v[6:7], s[10:11]
	s_delay_alu instid0(VALU_DEP_1) | instskip(SKIP_2) | instid1(VALU_DEP_3)
	v_and_or_b32 v6, 0x1ff, v7, v6
	v_lshrrev_b32_e32 v17, 8, v7
	v_bfe_u32 v34, v7, 20, 11
	v_cmp_ne_u32_e64 s0, 0, v6
	s_delay_alu instid0(VALU_DEP_1) | instskip(NEXT) | instid1(VALU_DEP_1)
	v_cndmask_b32_e64 v6, 0, 1, s0
	v_and_or_b32 v33, 0xffe, v17, v6
	s_delay_alu instid0(VALU_DEP_4) | instskip(NEXT) | instid1(VALU_DEP_2)
	v_sub_nc_u32_e32 v6, 0x3f1, v34
	v_or_b32_e32 v17, 0x1000, v33
	s_delay_alu instid0(VALU_DEP_2) | instskip(NEXT) | instid1(VALU_DEP_1)
	v_med3_i32 v6, v6, 0, 13
	v_lshrrev_b32_e32 v35, v6, v17
	s_delay_alu instid0(VALU_DEP_1) | instskip(NEXT) | instid1(VALU_DEP_1)
	v_lshlrev_b32_e32 v6, v6, v35
	v_cmp_ne_u32_e64 s0, v6, v17
	v_cvt_f32_f16_e32 v6, v16
	s_delay_alu instid0(VALU_DEP_1) | instskip(NEXT) | instid1(VALU_DEP_1)
	v_cvt_f64_f32_e32 v[16:17], v6
	v_mul_f64 v[16:17], v[16:17], s[10:11]
	s_delay_alu instid0(VALU_DEP_1) | instskip(SKIP_3) | instid1(VALU_DEP_4)
	v_and_or_b32 v6, 0x1ff, v17, v16
	v_lshrrev_b32_e32 v16, 8, v17
	v_bfe_u32 v36, v17, 20, 11
	v_lshrrev_b32_e32 v17, 16, v17
	v_cmp_ne_u32_e64 s1, 0, v6
	s_delay_alu instid0(VALU_DEP_1) | instskip(NEXT) | instid1(VALU_DEP_1)
	v_cndmask_b32_e64 v6, 0, 1, s1
	v_and_or_b32 v16, 0xffe, v16, v6
	v_sub_nc_u32_e32 v6, 0x3f1, v36
	s_delay_alu instid0(VALU_DEP_2) | instskip(NEXT) | instid1(VALU_DEP_2)
	v_or_b32_e32 v27, 0x1000, v16
	v_med3_i32 v6, v6, 0, 13
	s_delay_alu instid0(VALU_DEP_1) | instskip(NEXT) | instid1(VALU_DEP_1)
	v_lshrrev_b32_e32 v37, v6, v27
	v_lshlrev_b32_e32 v6, v6, v37
	s_delay_alu instid0(VALU_DEP_1) | instskip(SKIP_1) | instid1(VALU_DEP_1)
	v_cmp_ne_u32_e64 s1, v6, v27
	v_mad_u64_u32 v[27:28], null, s8, v30, 0
	v_mov_b32_e32 v6, v28
	s_delay_alu instid0(VALU_DEP_1) | instskip(SKIP_2) | instid1(VALU_DEP_2)
	v_mad_u64_u32 v[28:29], null, s9, v30, v[6:7]
	v_mul_f16_e32 v6, v39, v22
	v_lshrrev_b32_e32 v7, 16, v7
	v_fmac_f16_e32 v6, v38, v10
	s_delay_alu instid0(VALU_DEP_1) | instskip(NEXT) | instid1(VALU_DEP_1)
	v_cvt_f32_f16_e32 v6, v6
	v_cvt_f64_f32_e32 v[29:30], v6
	s_delay_alu instid0(VALU_DEP_1) | instskip(NEXT) | instid1(VALU_DEP_1)
	v_mul_f64 v[29:30], v[29:30], s[10:11]
	v_and_or_b32 v6, 0x1ff, v30, v29
	v_lshrrev_b32_e32 v10, 8, v30
	s_delay_alu instid0(VALU_DEP_2) | instskip(NEXT) | instid1(VALU_DEP_1)
	v_cmp_ne_u32_e64 s3, 0, v6
	v_cndmask_b32_e64 v6, 0, 1, s3
	s_delay_alu instid0(VALU_DEP_1) | instskip(SKIP_1) | instid1(VALU_DEP_2)
	v_and_or_b32 v6, 0xffe, v10, v6
	v_bfe_u32 v10, v30, 20, 11
	v_or_b32_e32 v29, 0x1000, v6
	s_delay_alu instid0(VALU_DEP_2) | instskip(SKIP_2) | instid1(VALU_DEP_3)
	v_sub_nc_u32_e32 v22, 0x3f1, v10
	v_add_nc_u32_e32 v10, 0xfffffc10, v10
	v_cmp_ne_u32_e64 s5, 0, v6
	v_med3_i32 v22, v22, 0, 13
	s_delay_alu instid0(VALU_DEP_1) | instskip(NEXT) | instid1(VALU_DEP_1)
	v_lshrrev_b32_e32 v38, v22, v29
	v_lshlrev_b32_e32 v22, v22, v38
	s_delay_alu instid0(VALU_DEP_1) | instskip(SKIP_3) | instid1(VALU_DEP_4)
	v_cmp_ne_u32_e64 s3, v22, v29
	v_lshl_or_b32 v29, v10, 12, v6
	v_cndmask_b32_e64 v6, 0, 1, vcc_lo
	v_cmp_gt_i32_e32 vcc_lo, 1, v18
	v_cndmask_b32_e64 v22, 0, 1, s3
	v_cmp_gt_i32_e64 s3, 1, v10
	s_delay_alu instid0(VALU_DEP_4) | instskip(SKIP_1) | instid1(VALU_DEP_4)
	v_or_b32_e32 v6, v21, v6
	v_lshl_or_b32 v21, v18, 12, v14
	v_or_b32_e32 v22, v38, v22
	s_delay_alu instid0(VALU_DEP_2) | instskip(NEXT) | instid1(VALU_DEP_2)
	v_cndmask_b32_e32 v6, v21, v6, vcc_lo
	v_cndmask_b32_e64 v22, v29, v22, s3
	s_delay_alu instid0(VALU_DEP_1) | instskip(SKIP_2) | instid1(VALU_DEP_3)
	v_and_b32_e32 v29, 7, v22
	v_lshrrev_b32_e32 v21, 2, v22
	v_cndmask_b32_e64 v22, 0, 1, s5
	v_cmp_lt_i32_e64 s3, 5, v29
	v_cmp_eq_u32_e64 s4, 3, v29
	s_delay_alu instid0(VALU_DEP_3) | instskip(NEXT) | instid1(VALU_DEP_2)
	v_lshl_or_b32 v22, v22, 9, 0x7c00
	s_or_b32 vcc_lo, s4, s3
	v_cmp_ne_u32_e64 s4, 0, v14
	v_add_co_ci_u32_e32 v21, vcc_lo, 0, v21, vcc_lo
	v_cmp_gt_i32_e32 vcc_lo, 31, v10
	s_delay_alu instid0(VALU_DEP_3) | instskip(NEXT) | instid1(VALU_DEP_3)
	v_cndmask_b32_e64 v14, 0, 1, s4
	v_cndmask_b32_e32 v21, 0x7c00, v21, vcc_lo
	v_cmp_eq_u32_e32 vcc_lo, 0x40f, v10
	s_delay_alu instid0(VALU_DEP_3) | instskip(NEXT) | instid1(VALU_DEP_3)
	v_lshl_or_b32 v14, v14, 9, 0x7c00
	v_cndmask_b32_e32 v10, v21, v22, vcc_lo
	v_and_b32_e32 v22, 7, v6
	v_lshrrev_b32_e32 v6, 2, v6
	v_lshrrev_b32_e32 v21, 16, v30
	s_delay_alu instid0(VALU_DEP_3) | instskip(SKIP_1) | instid1(VALU_DEP_3)
	v_cmp_lt_i32_e32 vcc_lo, 5, v22
	v_cmp_eq_u32_e64 s3, 3, v22
	v_and_or_b32 v10, 0x8000, v21, v10
	v_lshlrev_b64 v[21:22], 2, v[27:28]
	s_delay_alu instid0(VALU_DEP_3) | instskip(NEXT) | instid1(VALU_DEP_2)
	s_or_b32 vcc_lo, s3, vcc_lo
	v_and_b32_e32 v10, 0xffff, v10
	v_add_co_ci_u32_e32 v6, vcc_lo, 0, v6, vcc_lo
	v_cmp_gt_i32_e32 vcc_lo, 31, v18
	s_delay_alu instid0(VALU_DEP_2) | instskip(SKIP_1) | instid1(VALU_DEP_2)
	v_cndmask_b32_e32 v6, 0x7c00, v6, vcc_lo
	v_cmp_eq_u32_e32 vcc_lo, 0x40f, v18
	v_cndmask_b32_e32 v6, v6, v14, vcc_lo
	v_lshrrev_b32_e32 v14, 16, v15
	s_delay_alu instid0(VALU_DEP_1) | instskip(SKIP_2) | instid1(VALU_DEP_3)
	v_and_or_b32 v6, 0x8000, v14, v6
	v_add_co_u32 v14, vcc_lo, v23, s13
	v_add_co_ci_u32_e32 v15, vcc_lo, s12, v24, vcc_lo
	v_lshl_or_b32 v6, v6, 16, v10
	v_add_co_u32 v21, vcc_lo, v20, v21
	v_add_co_ci_u32_e32 v22, vcc_lo, v19, v22, vcc_lo
	global_store_b32 v[23:24], v6, off
	v_cvt_f64_f32_e32 v[23:24], v2
	s_delay_alu instid0(VALU_DEP_1) | instskip(NEXT) | instid1(VALU_DEP_1)
	v_mul_f64 v[23:24], v[23:24], s[10:11]
	v_and_or_b32 v2, 0x1ff, v24, v23
	v_lshrrev_b32_e32 v6, 8, v24
	s_delay_alu instid0(VALU_DEP_2) | instskip(SKIP_1) | instid1(VALU_DEP_1)
	v_cmp_ne_u32_e32 vcc_lo, 0, v2
	v_cndmask_b32_e64 v2, 0, 1, vcc_lo
	v_and_or_b32 v2, 0xffe, v6, v2
	v_bfe_u32 v6, v24, 20, 11
	s_delay_alu instid0(VALU_DEP_2) | instskip(NEXT) | instid1(VALU_DEP_2)
	v_or_b32_e32 v18, 0x1000, v2
	v_sub_nc_u32_e32 v10, 0x3f1, v6
	v_add_nc_u32_e32 v6, 0xfffffc10, v6
	s_delay_alu instid0(VALU_DEP_2) | instskip(NEXT) | instid1(VALU_DEP_1)
	v_med3_i32 v10, v10, 0, 13
	v_lshrrev_b32_e32 v23, v10, v18
	s_delay_alu instid0(VALU_DEP_1) | instskip(NEXT) | instid1(VALU_DEP_1)
	v_lshlrev_b32_e32 v10, v10, v23
	v_cmp_ne_u32_e32 vcc_lo, v10, v18
	v_lshl_or_b32 v18, v6, 12, v2
	v_cndmask_b32_e64 v10, 0, 1, vcc_lo
	v_cmp_gt_i32_e32 vcc_lo, 1, v6
	s_delay_alu instid0(VALU_DEP_2) | instskip(NEXT) | instid1(VALU_DEP_1)
	v_or_b32_e32 v10, v23, v10
	v_cndmask_b32_e32 v10, v18, v10, vcc_lo
	s_delay_alu instid0(VALU_DEP_1) | instskip(SKIP_1) | instid1(VALU_DEP_2)
	v_and_b32_e32 v18, 7, v10
	v_lshrrev_b32_e32 v10, 2, v10
	v_cmp_lt_i32_e32 vcc_lo, 5, v18
	v_cmp_eq_u32_e64 s3, 3, v18
	v_cndmask_b32_e64 v18, 0, 1, s2
	v_cmp_ne_u32_e64 s2, 0, v2
	v_add_nc_u32_e32 v2, 0xfffffc10, v31
	s_delay_alu instid0(VALU_DEP_4) | instskip(NEXT) | instid1(VALU_DEP_3)
	s_or_b32 vcc_lo, s3, vcc_lo
	v_or_b32_e32 v18, v32, v18
	v_add_co_ci_u32_e32 v10, vcc_lo, 0, v10, vcc_lo
	s_delay_alu instid0(VALU_DEP_3) | instskip(SKIP_3) | instid1(VALU_DEP_3)
	v_lshl_or_b32 v23, v2, 12, v25
	v_cmp_gt_i32_e64 s4, 1, v2
	v_cmp_gt_i32_e32 vcc_lo, 31, v6
	v_cmp_ne_u32_e64 s3, 0, v25
	v_cndmask_b32_e64 v18, v23, v18, s4
	v_cndmask_b32_e64 v23, 0, 1, s2
	v_cndmask_b32_e32 v10, 0x7c00, v10, vcc_lo
	v_cmp_eq_u32_e32 vcc_lo, 0x40f, v6
	v_cmp_ne_u32_e64 s4, 0, v16
	s_delay_alu instid0(VALU_DEP_4) | instskip(NEXT) | instid1(VALU_DEP_1)
	v_lshl_or_b32 v23, v23, 9, 0x7c00
	v_dual_cndmask_b32 v6, v10, v23 :: v_dual_and_b32 v23, 7, v18
	v_lshrrev_b32_e32 v10, 16, v24
	v_add_nc_u32_e32 v24, 0xfffffc10, v36
	s_delay_alu instid0(VALU_DEP_3) | instskip(SKIP_1) | instid1(VALU_DEP_4)
	v_cmp_lt_i32_e32 vcc_lo, 5, v23
	v_cmp_eq_u32_e64 s2, 3, v23
	v_and_or_b32 v6, 0x8000, v10, v6
	v_lshrrev_b32_e32 v10, 2, v18
	v_cndmask_b32_e64 v18, 0, 1, s3
	v_lshl_or_b32 v25, v24, 12, v16
	s_or_b32 vcc_lo, s2, vcc_lo
	v_cmp_ne_u32_e64 s3, 0, v33
	v_add_co_ci_u32_e32 v10, vcc_lo, 0, v10, vcc_lo
	v_cmp_gt_i32_e32 vcc_lo, 31, v2
	v_lshl_or_b32 v18, v18, 9, 0x7c00
	v_and_b32_e32 v6, 0xffff, v6
	s_delay_alu instid0(VALU_DEP_4) | instskip(SKIP_1) | instid1(VALU_DEP_2)
	v_cndmask_b32_e32 v10, 0x7c00, v10, vcc_lo
	v_cmp_eq_u32_e32 vcc_lo, 0x40f, v2
	v_cndmask_b32_e32 v2, v10, v18, vcc_lo
	v_lshrrev_b32_e32 v10, 16, v26
	v_cndmask_b32_e64 v18, 0, 1, s0
	s_delay_alu instid0(VALU_DEP_2) | instskip(SKIP_1) | instid1(VALU_DEP_3)
	v_and_or_b32 v2, 0x8000, v10, v2
	v_add_nc_u32_e32 v10, 0xfffffc10, v34
	v_or_b32_e32 v18, v35, v18
	s_delay_alu instid0(VALU_DEP_3) | instskip(NEXT) | instid1(VALU_DEP_3)
	v_lshl_or_b32 v2, v2, 16, v6
	v_lshl_or_b32 v23, v10, 12, v33
	v_cmp_gt_i32_e32 vcc_lo, 1, v10
	s_delay_alu instid0(VALU_DEP_2) | instskip(SKIP_2) | instid1(VALU_DEP_3)
	v_cndmask_b32_e32 v18, v23, v18, vcc_lo
	v_cndmask_b32_e64 v23, 0, 1, s1
	v_cmp_gt_i32_e32 vcc_lo, 1, v24
	v_lshrrev_b32_e32 v16, 2, v18
	s_delay_alu instid0(VALU_DEP_3) | instskip(NEXT) | instid1(VALU_DEP_1)
	v_or_b32_e32 v23, v37, v23
	v_cndmask_b32_e32 v23, v25, v23, vcc_lo
	v_and_b32_e32 v25, 7, v18
	v_cndmask_b32_e64 v18, 0, 1, s3
	s_delay_alu instid0(VALU_DEP_2) | instskip(SKIP_2) | instid1(VALU_DEP_4)
	v_cmp_lt_i32_e32 vcc_lo, 5, v25
	v_cmp_eq_u32_e64 s0, 3, v25
	v_and_b32_e32 v25, 7, v23
	v_lshl_or_b32 v18, v18, 9, 0x7c00
	s_delay_alu instid0(VALU_DEP_3) | instskip(NEXT) | instid1(VALU_DEP_2)
	s_or_b32 vcc_lo, s0, vcc_lo
	v_cmp_lt_i32_e64 s1, 5, v25
	v_add_co_ci_u32_e32 v16, vcc_lo, 0, v16, vcc_lo
	v_cmp_gt_i32_e32 vcc_lo, 31, v10
	v_cmp_eq_u32_e64 s2, 3, v25
	s_delay_alu instid0(VALU_DEP_3) | instskip(SKIP_1) | instid1(VALU_DEP_2)
	v_cndmask_b32_e32 v16, 0x7c00, v16, vcc_lo
	v_cmp_eq_u32_e32 vcc_lo, 0x40f, v10
	v_cndmask_b32_e32 v10, v16, v18, vcc_lo
	v_lshrrev_b32_e32 v16, 2, v23
	s_or_b32 vcc_lo, s2, s1
	v_cndmask_b32_e64 v18, 0, 1, s4
	s_delay_alu instid0(VALU_DEP_3) | instskip(NEXT) | instid1(VALU_DEP_3)
	v_and_or_b32 v7, 0x8000, v7, v10
	v_add_co_ci_u32_e32 v16, vcc_lo, 0, v16, vcc_lo
	v_cmp_gt_i32_e32 vcc_lo, 31, v24
	s_delay_alu instid0(VALU_DEP_4) | instskip(NEXT) | instid1(VALU_DEP_4)
	v_lshl_or_b32 v18, v18, 9, 0x7c00
	v_and_b32_e32 v7, 0xffff, v7
	s_delay_alu instid0(VALU_DEP_4) | instskip(SKIP_1) | instid1(VALU_DEP_2)
	v_cndmask_b32_e32 v16, 0x7c00, v16, vcc_lo
	v_cmp_eq_u32_e32 vcc_lo, 0x40f, v24
	v_cndmask_b32_e32 v16, v16, v18, vcc_lo
	s_delay_alu instid0(VALU_DEP_1) | instskip(NEXT) | instid1(VALU_DEP_1)
	v_and_or_b32 v6, 0x8000, v17, v16
	v_lshl_or_b32 v6, v6, 16, v7
	global_store_b32 v[14:15], v2, off
	global_store_b32 v[21:22], v6, off
	s_clause 0x5
	scratch_load_b32 v6, off, off offset:100
	scratch_load_b32 v39, off, off offset:104
	;; [unrolled: 1-line block ×6, first 2 shown]
	v_lshrrev_b32_e32 v2, 16, v9
	scratch_load_b32 v38, off, off offset:84 ; 4-byte Folded Reload
	s_waitcnt vmcnt(6)
	v_mul_f16_e32 v21, v6, v2
	v_mul_f16_e32 v6, v6, v9
	s_waitcnt vmcnt(4)
	s_delay_alu instid0(VALU_DEP_2) | instskip(NEXT) | instid1(VALU_DEP_2)
	v_fmac_f16_e32 v21, v7, v9
	v_fma_f16 v2, v7, v2, -v6
	s_delay_alu instid0(VALU_DEP_1) | instskip(NEXT) | instid1(VALU_DEP_1)
	v_cvt_f32_f16_e32 v2, v2
	v_cvt_f64_f32_e32 v[6:7], v2
	s_delay_alu instid0(VALU_DEP_1) | instskip(NEXT) | instid1(VALU_DEP_1)
	v_mul_f64 v[6:7], v[6:7], s[10:11]
	v_and_or_b32 v2, 0x1ff, v7, v6
	v_lshrrev_b32_e32 v6, 8, v7
	v_bfe_u32 v22, v7, 20, 11
	v_lshrrev_b32_e32 v7, 16, v7
	s_delay_alu instid0(VALU_DEP_4) | instskip(SKIP_1) | instid1(VALU_DEP_1)
	v_cmp_ne_u32_e32 vcc_lo, 0, v2
	v_cndmask_b32_e64 v2, 0, 1, vcc_lo
	v_and_or_b32 v6, 0xffe, v6, v2
	v_sub_nc_u32_e32 v2, 0x3f1, v22
	v_add_nc_u32_e32 v22, 0xfffffc10, v22
	s_delay_alu instid0(VALU_DEP_3) | instskip(NEXT) | instid1(VALU_DEP_3)
	v_or_b32_e32 v9, 0x1000, v6
	v_med3_i32 v2, v2, 0, 13
	v_cmp_ne_u32_e64 s5, 0, v6
	s_delay_alu instid0(VALU_DEP_2) | instskip(NEXT) | instid1(VALU_DEP_1)
	v_lshrrev_b32_e32 v23, v2, v9
	v_lshlrev_b32_e32 v2, v2, v23
	s_delay_alu instid0(VALU_DEP_1) | instskip(SKIP_2) | instid1(VALU_DEP_1)
	v_cmp_ne_u32_e32 vcc_lo, v2, v9
	v_lshrrev_b32_e32 v9, 16, v13
	s_waitcnt vmcnt(3)
	v_mul_f16_e32 v2, v10, v9
	v_mul_f16_e32 v10, v10, v13
	s_waitcnt vmcnt(2)
	s_delay_alu instid0(VALU_DEP_2) | instskip(NEXT) | instid1(VALU_DEP_2)
	v_fmac_f16_e32 v2, v16, v13
	v_fma_f16 v24, v16, v9, -v10
	ds_load_2addr_b32 v[9:10], v176 offset0:64 offset1:160
	v_cvt_f32_f16_e32 v2, v2
	s_waitcnt lgkmcnt(0)
	v_lshrrev_b32_e32 v28, 16, v9
	s_waitcnt vmcnt(1)
	v_mul_f16_e32 v13, v40, v9
	s_delay_alu instid0(VALU_DEP_1) | instskip(NEXT) | instid1(VALU_DEP_1)
	v_fma_f16 v13, v39, v28, -v13
	v_cvt_f32_f16_e32 v13, v13
	s_delay_alu instid0(VALU_DEP_1) | instskip(NEXT) | instid1(VALU_DEP_1)
	v_cvt_f64_f32_e32 v[16:17], v13
	v_mul_f64 v[17:18], v[16:17], s[10:11]
	s_delay_alu instid0(VALU_DEP_1) | instskip(SKIP_2) | instid1(VALU_DEP_3)
	v_and_or_b32 v13, 0x1ff, v18, v17
	v_lshrrev_b32_e32 v16, 8, v18
	v_bfe_u32 v30, v18, 20, 11
	v_cmp_ne_u32_e64 s0, 0, v13
	s_delay_alu instid0(VALU_DEP_1) | instskip(NEXT) | instid1(VALU_DEP_1)
	v_cndmask_b32_e64 v13, 0, 1, s0
	v_and_or_b32 v29, 0xffe, v16, v13
	s_delay_alu instid0(VALU_DEP_4) | instskip(NEXT) | instid1(VALU_DEP_2)
	v_sub_nc_u32_e32 v13, 0x3f1, v30
	v_or_b32_e32 v16, 0x1000, v29
	s_delay_alu instid0(VALU_DEP_2) | instskip(NEXT) | instid1(VALU_DEP_1)
	v_med3_i32 v13, v13, 0, 13
	v_lshrrev_b32_e32 v31, v13, v16
	s_delay_alu instid0(VALU_DEP_1) | instskip(NEXT) | instid1(VALU_DEP_1)
	v_lshlrev_b32_e32 v13, v13, v31
	v_cmp_ne_u32_e64 s0, v13, v16
	v_add_co_u32 v13, s1, v14, s15
	s_delay_alu instid0(VALU_DEP_1) | instskip(SKIP_1) | instid1(VALU_DEP_1)
	v_add_co_ci_u32_e64 v14, s1, s14, v15, s1
	v_cvt_f32_f16_e32 v15, v21
	v_cvt_f64_f32_e32 v[15:16], v15
	s_delay_alu instid0(VALU_DEP_1) | instskip(NEXT) | instid1(VALU_DEP_1)
	v_mul_f64 v[15:16], v[15:16], s[10:11]
	v_and_or_b32 v15, 0x1ff, v16, v15
	v_lshrrev_b32_e32 v17, 8, v16
	s_delay_alu instid0(VALU_DEP_2) | instskip(NEXT) | instid1(VALU_DEP_1)
	v_cmp_ne_u32_e64 s1, 0, v15
	v_cndmask_b32_e64 v15, 0, 1, s1
	s_delay_alu instid0(VALU_DEP_1) | instskip(SKIP_1) | instid1(VALU_DEP_2)
	v_and_or_b32 v15, 0xffe, v17, v15
	v_bfe_u32 v17, v16, 20, 11
	v_or_b32_e32 v25, 0x1000, v15
	s_delay_alu instid0(VALU_DEP_2) | instskip(SKIP_2) | instid1(VALU_DEP_3)
	v_sub_nc_u32_e32 v21, 0x3f1, v17
	v_add_nc_u32_e32 v17, 0xfffffc10, v17
	v_cmp_ne_u32_e64 s2, 0, v15
	v_med3_i32 v21, v21, 0, 13
	s_delay_alu instid0(VALU_DEP_1) | instskip(NEXT) | instid1(VALU_DEP_1)
	v_lshrrev_b32_e32 v26, v21, v25
	v_lshlrev_b32_e32 v21, v21, v26
	s_delay_alu instid0(VALU_DEP_1) | instskip(SKIP_1) | instid1(VALU_DEP_2)
	v_cmp_ne_u32_e64 s1, v21, v25
	v_lshl_or_b32 v25, v17, 12, v15
	v_cndmask_b32_e64 v21, 0, 1, s1
	v_cmp_gt_i32_e64 s1, 1, v17
	s_delay_alu instid0(VALU_DEP_2) | instskip(SKIP_2) | instid1(VALU_DEP_2)
	v_or_b32_e32 v21, v26, v21
	s_waitcnt vmcnt(0)
	v_mad_u64_u32 v[26:27], null, s8, v38, 0
	v_cndmask_b32_e64 v21, v25, v21, s1
	v_cndmask_b32_e64 v25, 0, 1, vcc_lo
	v_cmp_gt_i32_e32 vcc_lo, 1, v22
	s_delay_alu instid0(VALU_DEP_2) | instskip(SKIP_2) | instid1(VALU_DEP_2)
	v_or_b32_e32 v23, v23, v25
	v_lshl_or_b32 v25, v22, 12, v6
	v_lshrrev_b32_e32 v6, 2, v21
	v_cndmask_b32_e32 v23, v25, v23, vcc_lo
	v_and_b32_e32 v25, 7, v21
	s_delay_alu instid0(VALU_DEP_2) | instskip(NEXT) | instid1(VALU_DEP_2)
	v_and_b32_e32 v15, 7, v23
	v_cmp_lt_i32_e32 vcc_lo, 5, v25
	v_cmp_eq_u32_e64 s1, 3, v25
	s_delay_alu instid0(VALU_DEP_3) | instskip(SKIP_1) | instid1(VALU_DEP_3)
	v_cmp_lt_i32_e64 s3, 5, v15
	v_cmp_eq_u32_e64 s4, 3, v15
	s_or_b32 vcc_lo, s1, vcc_lo
	v_cndmask_b32_e64 v15, 0, 1, s2
	v_add_co_ci_u32_e32 v6, vcc_lo, 0, v6, vcc_lo
	v_cmp_gt_i32_e32 vcc_lo, 31, v17
	s_delay_alu instid0(VALU_DEP_3) | instskip(NEXT) | instid1(VALU_DEP_3)
	v_lshl_or_b32 v15, v15, 9, 0x7c00
	v_cndmask_b32_e32 v6, 0x7c00, v6, vcc_lo
	v_cmp_eq_u32_e32 vcc_lo, 0x40f, v17
	v_cndmask_b32_e64 v17, 0, 1, s5
	s_delay_alu instid0(VALU_DEP_3) | instskip(SKIP_4) | instid1(VALU_DEP_3)
	v_cndmask_b32_e32 v6, v6, v15, vcc_lo
	v_lshrrev_b32_e32 v15, 16, v16
	v_lshrrev_b32_e32 v16, 2, v23
	s_or_b32 vcc_lo, s4, s3
	v_lshl_or_b32 v17, v17, 9, 0x7c00
	v_and_or_b32 v6, 0x8000, v15, v6
	s_delay_alu instid0(VALU_DEP_3)
	v_add_co_ci_u32_e32 v16, vcc_lo, 0, v16, vcc_lo
	v_cmp_gt_i32_e32 vcc_lo, 31, v22
	scratch_load_b32 v15, off, off offset:92 ; 4-byte Folded Reload
	v_and_b32_e32 v6, 0xffff, v6
	v_cndmask_b32_e32 v16, 0x7c00, v16, vcc_lo
	v_cmp_eq_u32_e32 vcc_lo, 0x40f, v22
	s_delay_alu instid0(VALU_DEP_2) | instskip(SKIP_2) | instid1(VALU_DEP_3)
	v_cndmask_b32_e32 v16, v16, v17, vcc_lo
	v_add_co_u32 v22, vcc_lo, v13, s13
	v_add_co_ci_u32_e32 v23, vcc_lo, s12, v14, vcc_lo
	v_and_or_b32 v7, 0x8000, v7, v16
	s_delay_alu instid0(VALU_DEP_1) | instskip(SKIP_4) | instid1(VALU_DEP_1)
	v_lshl_or_b32 v6, v7, 16, v6
	global_store_b32 v[13:14], v6, off
	v_cvt_f32_f16_e32 v6, v24
	scratch_load_b32 v24, off, off offset:88 ; 4-byte Folded Reload
	v_cvt_f64_f32_e32 v[6:7], v6
	v_mul_f64 v[16:17], v[6:7], s[10:11]
	s_delay_alu instid0(VALU_DEP_1) | instskip(SKIP_3) | instid1(VALU_DEP_4)
	v_and_or_b32 v6, 0x1ff, v17, v16
	v_lshrrev_b32_e32 v7, 8, v17
	v_bfe_u32 v32, v17, 20, 11
	v_lshrrev_b32_e32 v17, 16, v17
	v_cmp_ne_u32_e32 vcc_lo, 0, v6
	v_cndmask_b32_e64 v6, 0, 1, vcc_lo
	s_delay_alu instid0(VALU_DEP_1) | instskip(SKIP_1) | instid1(VALU_DEP_2)
	v_and_or_b32 v21, 0xffe, v7, v6
	v_sub_nc_u32_e32 v6, 0x3f1, v32
	v_or_b32_e32 v7, 0x1000, v21
	s_delay_alu instid0(VALU_DEP_2) | instskip(NEXT) | instid1(VALU_DEP_1)
	v_med3_i32 v6, v6, 0, 13
	v_lshrrev_b32_e32 v33, v6, v7
	s_delay_alu instid0(VALU_DEP_1) | instskip(NEXT) | instid1(VALU_DEP_1)
	v_lshlrev_b32_e32 v6, v6, v33
	v_cmp_ne_u32_e32 vcc_lo, v6, v7
	ds_load_2addr_b32 v[6:7], v178 offset0:128 offset1:224
	s_waitcnt lgkmcnt(0)
	v_lshrrev_b32_e32 v13, 16, v6
	s_waitcnt vmcnt(1)
	v_mul_f16_e32 v14, v15, v6
	s_delay_alu instid0(VALU_DEP_2) | instskip(SKIP_1) | instid1(VALU_DEP_1)
	v_mul_f16_e32 v15, v15, v13
	s_waitcnt vmcnt(0)
	v_fmac_f16_e32 v15, v24, v6
	s_delay_alu instid0(VALU_DEP_3) | instskip(NEXT) | instid1(VALU_DEP_2)
	v_fma_f16 v16, v24, v13, -v14
	v_cvt_f32_f16_e32 v6, v15
	s_delay_alu instid0(VALU_DEP_1) | instskip(NEXT) | instid1(VALU_DEP_1)
	v_cvt_f64_f32_e32 v[13:14], v6
	v_mul_f64 v[13:14], v[13:14], s[10:11]
	s_delay_alu instid0(VALU_DEP_1) | instskip(SKIP_3) | instid1(VALU_DEP_4)
	v_and_or_b32 v6, 0x1ff, v14, v13
	v_lshrrev_b32_e32 v13, 8, v14
	v_bfe_u32 v34, v14, 20, 11
	v_lshrrev_b32_e32 v14, 16, v14
	v_cmp_ne_u32_e64 s1, 0, v6
	s_delay_alu instid0(VALU_DEP_1) | instskip(NEXT) | instid1(VALU_DEP_1)
	v_cndmask_b32_e64 v6, 0, 1, s1
	v_and_or_b32 v13, 0xffe, v13, v6
	v_sub_nc_u32_e32 v6, 0x3f1, v34
	s_delay_alu instid0(VALU_DEP_2) | instskip(NEXT) | instid1(VALU_DEP_2)
	v_or_b32_e32 v15, 0x1000, v13
	v_med3_i32 v6, v6, 0, 13
	s_delay_alu instid0(VALU_DEP_1) | instskip(NEXT) | instid1(VALU_DEP_1)
	v_lshrrev_b32_e32 v35, v6, v15
	v_lshlrev_b32_e32 v6, v6, v35
	s_delay_alu instid0(VALU_DEP_1) | instskip(SKIP_1) | instid1(VALU_DEP_1)
	v_cmp_ne_u32_e64 s1, v6, v15
	v_cvt_f32_f16_e32 v6, v16
	v_cvt_f64_f32_e32 v[15:16], v6
	s_delay_alu instid0(VALU_DEP_1) | instskip(NEXT) | instid1(VALU_DEP_1)
	v_mul_f64 v[24:25], v[15:16], s[10:11]
	v_and_or_b32 v6, 0x1ff, v25, v24
	v_lshrrev_b32_e32 v15, 8, v25
	v_bfe_u32 v36, v25, 20, 11
	s_delay_alu instid0(VALU_DEP_3) | instskip(NEXT) | instid1(VALU_DEP_1)
	v_cmp_ne_u32_e64 s2, 0, v6
	v_cndmask_b32_e64 v6, 0, 1, s2
	s_delay_alu instid0(VALU_DEP_1) | instskip(NEXT) | instid1(VALU_DEP_4)
	v_and_or_b32 v24, 0xffe, v15, v6
	v_sub_nc_u32_e32 v6, 0x3f1, v36
	s_delay_alu instid0(VALU_DEP_2) | instskip(NEXT) | instid1(VALU_DEP_2)
	v_or_b32_e32 v15, 0x1000, v24
	v_med3_i32 v6, v6, 0, 13
	s_delay_alu instid0(VALU_DEP_1) | instskip(NEXT) | instid1(VALU_DEP_1)
	v_lshrrev_b32_e32 v37, v6, v15
	v_lshlrev_b32_e32 v6, v6, v37
	s_delay_alu instid0(VALU_DEP_1) | instskip(SKIP_1) | instid1(VALU_DEP_1)
	v_cmp_ne_u32_e64 s2, v6, v15
	v_mov_b32_e32 v6, v27
	v_mad_u64_u32 v[15:16], null, s9, v38, v[6:7]
	v_mul_f16_e32 v6, v40, v28
	s_delay_alu instid0(VALU_DEP_1) | instskip(NEXT) | instid1(VALU_DEP_3)
	v_fmac_f16_e32 v6, v39, v9
	v_mov_b32_e32 v27, v15
	s_delay_alu instid0(VALU_DEP_2) | instskip(NEXT) | instid1(VALU_DEP_1)
	v_cvt_f32_f16_e32 v6, v6
	v_cvt_f64_f32_e32 v[15:16], v6
	s_delay_alu instid0(VALU_DEP_1) | instskip(NEXT) | instid1(VALU_DEP_1)
	v_mul_f64 v[15:16], v[15:16], s[10:11]
	v_and_or_b32 v6, 0x1ff, v16, v15
	v_lshrrev_b32_e32 v9, 8, v16
	s_delay_alu instid0(VALU_DEP_2) | instskip(NEXT) | instid1(VALU_DEP_1)
	v_cmp_ne_u32_e64 s3, 0, v6
	v_cndmask_b32_e64 v6, 0, 1, s3
	s_delay_alu instid0(VALU_DEP_1) | instskip(SKIP_1) | instid1(VALU_DEP_2)
	v_and_or_b32 v6, 0xffe, v9, v6
	v_bfe_u32 v9, v16, 20, 11
	v_or_b32_e32 v28, 0x1000, v6
	s_delay_alu instid0(VALU_DEP_2) | instskip(SKIP_2) | instid1(VALU_DEP_3)
	v_sub_nc_u32_e32 v15, 0x3f1, v9
	v_add_nc_u32_e32 v9, 0xfffffc10, v9
	v_cmp_ne_u32_e64 s5, 0, v6
	v_med3_i32 v15, v15, 0, 13
	s_delay_alu instid0(VALU_DEP_1) | instskip(NEXT) | instid1(VALU_DEP_1)
	v_lshrrev_b32_e32 v38, v15, v28
	v_lshlrev_b32_e32 v15, v15, v38
	s_delay_alu instid0(VALU_DEP_1) | instskip(SKIP_2) | instid1(VALU_DEP_3)
	v_cmp_ne_u32_e64 s3, v15, v28
	v_lshl_or_b32 v28, v9, 12, v6
	v_cndmask_b32_e64 v6, 0, 1, s0
	v_cndmask_b32_e64 v15, 0, 1, s3
	v_cmp_gt_i32_e64 s3, 1, v9
	s_delay_alu instid0(VALU_DEP_3) | instskip(NEXT) | instid1(VALU_DEP_3)
	v_or_b32_e32 v6, v31, v6
	v_or_b32_e32 v15, v38, v15
	s_delay_alu instid0(VALU_DEP_1) | instskip(NEXT) | instid1(VALU_DEP_1)
	v_cndmask_b32_e64 v15, v28, v15, s3
	v_and_b32_e32 v28, 7, v15
	v_lshrrev_b32_e32 v15, 2, v15
	s_delay_alu instid0(VALU_DEP_2) | instskip(SKIP_2) | instid1(VALU_DEP_1)
	v_cmp_lt_i32_e64 s3, 5, v28
	v_cmp_eq_u32_e64 s4, 3, v28
	v_add_nc_u32_e32 v28, 0xfffffc10, v30
	v_lshl_or_b32 v30, v28, 12, v29
	v_cmp_gt_i32_e64 s0, 1, v28
	s_delay_alu instid0(VALU_DEP_1)
	v_cndmask_b32_e64 v6, v30, v6, s0
	s_or_b32 s0, s4, s3
	v_cndmask_b32_e64 v30, 0, 1, s5
	v_add_co_ci_u32_e64 v15, s0, 0, v15, s0
	v_cmp_gt_i32_e64 s0, 31, v9
	v_cmp_ne_u32_e64 s4, 0, v29
	s_delay_alu instid0(VALU_DEP_4) | instskip(NEXT) | instid1(VALU_DEP_3)
	v_lshl_or_b32 v30, v30, 9, 0x7c00
	v_cndmask_b32_e64 v15, 0x7c00, v15, s0
	v_cmp_eq_u32_e64 s0, 0x40f, v9
	s_delay_alu instid0(VALU_DEP_1) | instskip(SKIP_3) | instid1(VALU_DEP_3)
	v_cndmask_b32_e64 v9, v15, v30, s0
	v_lshrrev_b32_e32 v15, 16, v16
	v_and_b32_e32 v16, 7, v6
	v_lshrrev_b32_e32 v6, 2, v6
	v_and_or_b32 v9, 0x8000, v15, v9
	s_delay_alu instid0(VALU_DEP_3) | instskip(SKIP_2) | instid1(VALU_DEP_4)
	v_cmp_lt_i32_e64 s0, 5, v16
	v_cmp_eq_u32_e64 s3, 3, v16
	v_cndmask_b32_e64 v16, 0, 1, s4
	v_and_b32_e32 v9, 0xffff, v9
	s_delay_alu instid0(VALU_DEP_3) | instskip(NEXT) | instid1(VALU_DEP_2)
	s_or_b32 s0, s3, s0
	v_lshl_or_b32 v16, v16, 9, 0x7c00
	v_add_co_ci_u32_e64 v6, s0, 0, v6, s0
	v_cmp_gt_i32_e64 s0, 31, v28
	s_delay_alu instid0(VALU_DEP_1) | instskip(SKIP_1) | instid1(VALU_DEP_1)
	v_cndmask_b32_e64 v6, 0x7c00, v6, s0
	v_cmp_eq_u32_e64 s0, 0x40f, v28
	v_cndmask_b32_e64 v6, v6, v16, s0
	v_lshrrev_b32_e32 v16, 16, v18
	v_add_co_u32 v15, s0, v22, s13
	s_delay_alu instid0(VALU_DEP_2) | instskip(SKIP_1) | instid1(VALU_DEP_2)
	v_and_or_b32 v6, 0x8000, v16, v6
	v_add_co_ci_u32_e64 v16, s0, s12, v23, s0
	v_lshl_or_b32 v6, v6, 16, v9
	global_store_b32 v[22:23], v6, off
	v_lshlrev_b64 v[22:23], 2, v[26:27]
	v_cvt_f64_f32_e32 v[26:27], v2
	s_delay_alu instid0(VALU_DEP_2) | instskip(NEXT) | instid1(VALU_DEP_1)
	v_add_co_u32 v22, s0, v20, v22
	v_add_co_ci_u32_e64 v23, s0, v19, v23, s0
	s_delay_alu instid0(VALU_DEP_3) | instskip(NEXT) | instid1(VALU_DEP_1)
	v_mul_f64 v[26:27], v[26:27], s[10:11]
	v_and_or_b32 v2, 0x1ff, v27, v26
	v_lshrrev_b32_e32 v6, 8, v27
	s_delay_alu instid0(VALU_DEP_2) | instskip(NEXT) | instid1(VALU_DEP_1)
	v_cmp_ne_u32_e64 s0, 0, v2
	v_cndmask_b32_e64 v2, 0, 1, s0
	s_delay_alu instid0(VALU_DEP_1) | instskip(SKIP_1) | instid1(VALU_DEP_2)
	v_and_or_b32 v2, 0xffe, v6, v2
	v_bfe_u32 v6, v27, 20, 11
	v_or_b32_e32 v18, 0x1000, v2
	s_delay_alu instid0(VALU_DEP_2) | instskip(SKIP_1) | instid1(VALU_DEP_2)
	v_sub_nc_u32_e32 v9, 0x3f1, v6
	v_add_nc_u32_e32 v6, 0xfffffc10, v6
	v_med3_i32 v9, v9, 0, 13
	s_delay_alu instid0(VALU_DEP_1) | instskip(NEXT) | instid1(VALU_DEP_1)
	v_lshrrev_b32_e32 v26, v9, v18
	v_lshlrev_b32_e32 v9, v9, v26
	s_delay_alu instid0(VALU_DEP_1) | instskip(SKIP_1) | instid1(VALU_DEP_2)
	v_cmp_ne_u32_e64 s0, v9, v18
	v_lshl_or_b32 v18, v6, 12, v2
	v_cndmask_b32_e64 v9, 0, 1, s0
	v_cmp_gt_i32_e64 s0, 1, v6
	s_delay_alu instid0(VALU_DEP_2) | instskip(NEXT) | instid1(VALU_DEP_1)
	v_or_b32_e32 v9, v26, v9
	v_cndmask_b32_e64 v9, v18, v9, s0
	s_delay_alu instid0(VALU_DEP_1) | instskip(SKIP_1) | instid1(VALU_DEP_2)
	v_and_b32_e32 v18, 7, v9
	v_lshrrev_b32_e32 v9, 2, v9
	v_cmp_lt_i32_e64 s0, 5, v18
	v_cmp_eq_u32_e64 s3, 3, v18
	v_cndmask_b32_e64 v18, 0, 1, vcc_lo
	v_cmp_ne_u32_e32 vcc_lo, 0, v2
	v_add_nc_u32_e32 v2, 0xfffffc10, v32
	s_delay_alu instid0(VALU_DEP_4) | instskip(NEXT) | instid1(VALU_DEP_3)
	s_or_b32 s0, s3, s0
	v_or_b32_e32 v18, v33, v18
	v_add_co_ci_u32_e64 v9, s0, 0, v9, s0
	s_delay_alu instid0(VALU_DEP_3)
	v_lshl_or_b32 v26, v2, 12, v21
	v_cmp_gt_i32_e64 s4, 1, v2
	v_cmp_gt_i32_e64 s0, 31, v6
	v_cmp_ne_u32_e64 s3, 0, v21
	v_cndmask_b32_e64 v21, 0, 1, s1
	v_cmp_ne_u32_e64 s1, 0, v13
	v_cndmask_b32_e64 v18, v26, v18, s4
	v_cndmask_b32_e64 v26, 0, 1, vcc_lo
	v_cndmask_b32_e64 v9, 0x7c00, v9, s0
	v_cmp_eq_u32_e32 vcc_lo, 0x40f, v6
	v_or_b32_e32 v21, v35, v21
	s_delay_alu instid0(VALU_DEP_4) | instskip(NEXT) | instid1(VALU_DEP_1)
	v_lshl_or_b32 v26, v26, 9, 0x7c00
	v_cndmask_b32_e32 v6, v9, v26, vcc_lo
	v_and_b32_e32 v9, 7, v18
	v_lshrrev_b32_e32 v18, 2, v18
	v_cndmask_b32_e64 v26, 0, 1, s3
	s_delay_alu instid0(VALU_DEP_3) | instskip(SKIP_1) | instid1(VALU_DEP_3)
	v_cmp_lt_i32_e32 vcc_lo, 5, v9
	v_cmp_eq_u32_e64 s0, 3, v9
	v_lshl_or_b32 v26, v26, 9, 0x7c00
	v_lshrrev_b32_e32 v9, 16, v27
	s_delay_alu instid0(VALU_DEP_3) | instskip(SKIP_2) | instid1(VALU_DEP_3)
	s_or_b32 vcc_lo, s0, vcc_lo
	v_add_co_ci_u32_e32 v18, vcc_lo, 0, v18, vcc_lo
	v_cmp_gt_i32_e32 vcc_lo, 31, v2
	v_and_or_b32 v6, 0x8000, v9, v6
	s_delay_alu instid0(VALU_DEP_3) | instskip(SKIP_1) | instid1(VALU_DEP_3)
	v_cndmask_b32_e32 v18, 0x7c00, v18, vcc_lo
	v_cmp_eq_u32_e32 vcc_lo, 0x40f, v2
	v_and_b32_e32 v6, 0xffff, v6
	s_delay_alu instid0(VALU_DEP_3) | instskip(SKIP_1) | instid1(VALU_DEP_2)
	v_cndmask_b32_e32 v2, v18, v26, vcc_lo
	v_add_nc_u32_e32 v18, 0xfffffc10, v34
	v_and_or_b32 v2, 0x8000, v17, v2
	s_delay_alu instid0(VALU_DEP_2) | instskip(SKIP_2) | instid1(VALU_DEP_4)
	v_lshl_or_b32 v26, v18, 12, v13
	v_cmp_gt_i32_e32 vcc_lo, 1, v18
	v_add_nc_u32_e32 v13, 0xfffffc10, v36
	v_lshl_or_b32 v2, v2, 16, v6
	s_delay_alu instid0(VALU_DEP_4) | instskip(NEXT) | instid1(VALU_DEP_3)
	v_cndmask_b32_e32 v21, v26, v21, vcc_lo
	v_lshl_or_b32 v17, v13, 12, v24
	s_delay_alu instid0(VALU_DEP_2) | instskip(NEXT) | instid1(VALU_DEP_1)
	v_and_b32_e32 v9, 7, v21
	v_cmp_lt_i32_e32 vcc_lo, 5, v9
	v_cmp_eq_u32_e64 s0, 3, v9
	v_cndmask_b32_e64 v9, 0, 1, s2
	v_cmp_gt_i32_e64 s2, 1, v13
	s_delay_alu instid0(VALU_DEP_3) | instskip(NEXT) | instid1(VALU_DEP_2)
	s_or_b32 vcc_lo, s0, vcc_lo
	v_or_b32_e32 v9, v37, v9
	s_delay_alu instid0(VALU_DEP_1) | instskip(SKIP_3) | instid1(VALU_DEP_3)
	v_cndmask_b32_e64 v9, v17, v9, s2
	v_lshrrev_b32_e32 v17, 2, v21
	v_cndmask_b32_e64 v21, 0, 1, s1
	v_cmp_ne_u32_e64 s1, 0, v24
	v_add_co_ci_u32_e32 v17, vcc_lo, 0, v17, vcc_lo
	v_cmp_gt_i32_e32 vcc_lo, 31, v18
	s_delay_alu instid0(VALU_DEP_4) | instskip(NEXT) | instid1(VALU_DEP_3)
	v_lshl_or_b32 v21, v21, 9, 0x7c00
	v_cndmask_b32_e32 v17, 0x7c00, v17, vcc_lo
	v_cmp_eq_u32_e32 vcc_lo, 0x40f, v18
	v_and_b32_e32 v18, 7, v9
	v_lshrrev_b32_e32 v9, 2, v9
	s_delay_alu instid0(VALU_DEP_4) | instskip(NEXT) | instid1(VALU_DEP_3)
	v_cndmask_b32_e32 v17, v17, v21, vcc_lo
	v_cmp_lt_i32_e32 vcc_lo, 5, v18
	v_cmp_eq_u32_e64 s0, 3, v18
	s_delay_alu instid0(VALU_DEP_3) | instskip(SKIP_1) | instid1(VALU_DEP_3)
	v_and_or_b32 v14, 0x8000, v14, v17
	v_cndmask_b32_e64 v17, 0, 1, s1
	s_or_b32 vcc_lo, s0, vcc_lo
	v_add_co_ci_u32_e32 v9, vcc_lo, 0, v9, vcc_lo
	v_cmp_gt_i32_e32 vcc_lo, 31, v13
	s_delay_alu instid0(VALU_DEP_3) | instskip(NEXT) | instid1(VALU_DEP_3)
	v_lshl_or_b32 v17, v17, 9, 0x7c00
	v_cndmask_b32_e32 v9, 0x7c00, v9, vcc_lo
	v_cmp_eq_u32_e32 vcc_lo, 0x40f, v13
	v_lshrrev_b32_e32 v13, 16, v25
	s_delay_alu instid0(VALU_DEP_3) | instskip(NEXT) | instid1(VALU_DEP_1)
	v_cndmask_b32_e32 v9, v9, v17, vcc_lo
	v_and_or_b32 v6, 0x8000, v13, v9
	v_and_b32_e32 v9, 0xffff, v14
	s_delay_alu instid0(VALU_DEP_1)
	v_lshl_or_b32 v6, v6, 16, v9
	global_store_b32 v[15:16], v2, off
	global_store_b32 v[22:23], v6, off
	s_clause 0x1
	scratch_load_b32 v6, off, off offset:80
	scratch_load_b32 v9, off, off offset:76
	v_lshrrev_b32_e32 v2, 16, v0
	s_clause 0x2
	scratch_load_b32 v13, off, off offset:68
	scratch_load_b32 v23, off, off offset:60
	;; [unrolled: 1-line block ×3, first 2 shown]
	s_waitcnt vmcnt(4)
	v_mul_f16_e32 v26, v6, v2
	v_mul_f16_e32 v6, v6, v0
	s_waitcnt vmcnt(3)
	s_delay_alu instid0(VALU_DEP_2) | instskip(NEXT) | instid1(VALU_DEP_2)
	v_fmac_f16_e32 v26, v9, v0
	v_fma_f16 v0, v9, v2, -v6
	scratch_load_b32 v9, off, off offset:72 ; 4-byte Folded Reload
	v_lshrrev_b32_e32 v2, 16, v12
	v_cvt_f32_f16_e32 v0, v0
	s_waitcnt vmcnt(0)
	s_delay_alu instid0(VALU_DEP_2) | instskip(SKIP_1) | instid1(VALU_DEP_2)
	v_mul_f16_e32 v6, v9, v2
	v_mul_f16_e32 v9, v9, v12
	v_fmac_f16_e32 v6, v13, v12
	s_delay_alu instid0(VALU_DEP_2) | instskip(SKIP_1) | instid1(VALU_DEP_1)
	v_fma_f16 v17, v13, v2, -v9
	v_cvt_f64_f32_e32 v[12:13], v0
	v_mul_f64 v[24:25], v[12:13], s[10:11]
	v_lshrrev_b32_e32 v12, 16, v3
	s_delay_alu instid0(VALU_DEP_2) | instskip(SKIP_2) | instid1(VALU_DEP_3)
	v_and_or_b32 v0, 0x1ff, v25, v24
	v_lshrrev_b32_e32 v2, 8, v25
	v_bfe_u32 v28, v25, 20, 11
	v_cmp_ne_u32_e32 vcc_lo, 0, v0
	v_cndmask_b32_e64 v0, 0, 1, vcc_lo
	s_delay_alu instid0(VALU_DEP_1) | instskip(NEXT) | instid1(VALU_DEP_4)
	v_and_or_b32 v27, 0xffe, v2, v0
	v_sub_nc_u32_e32 v0, 0x3f1, v28
	v_add_nc_u32_e32 v28, 0xfffffc10, v28
	s_delay_alu instid0(VALU_DEP_3) | instskip(NEXT) | instid1(VALU_DEP_3)
	v_or_b32_e32 v2, 0x1000, v27
	v_med3_i32 v0, v0, 0, 13
	v_cmp_ne_u32_e64 s7, 0, v27
	s_delay_alu instid0(VALU_DEP_2) | instskip(NEXT) | instid1(VALU_DEP_1)
	v_lshrrev_b32_e32 v29, v0, v2
	v_lshlrev_b32_e32 v0, v0, v29
	s_delay_alu instid0(VALU_DEP_1)
	v_cmp_ne_u32_e64 s2, v0, v2
	scratch_load_b32 v0, off, off offset:64 ; 4-byte Folded Reload
	s_waitcnt vmcnt(0)
	v_mul_f16_e32 v18, v0, v12
	v_mul_f16_e32 v22, v0, v3
	v_cvt_f32_f16_e32 v0, v6
	s_delay_alu instid0(VALU_DEP_3) | instskip(NEXT) | instid1(VALU_DEP_3)
	v_fmac_f16_e32 v18, v23, v3
	v_fma_f16 v30, v23, v12, -v22
	s_delay_alu instid0(VALU_DEP_3) | instskip(NEXT) | instid1(VALU_DEP_1)
	v_cvt_f64_f32_e32 v[2:3], v0
	v_mul_f64 v[13:14], v[2:3], s[10:11]
	s_delay_alu instid0(VALU_DEP_1) | instskip(SKIP_2) | instid1(VALU_DEP_3)
	v_and_or_b32 v0, 0x1ff, v14, v13
	v_lshrrev_b32_e32 v2, 8, v14
	v_bfe_u32 v9, v14, 20, 11
	v_cmp_ne_u32_e32 vcc_lo, 0, v0
	v_cndmask_b32_e64 v0, 0, 1, vcc_lo
	s_delay_alu instid0(VALU_DEP_1) | instskip(NEXT) | instid1(VALU_DEP_4)
	v_and_or_b32 v0, 0xffe, v2, v0
	v_sub_nc_u32_e32 v2, 0x3f1, v9
	v_add_nc_u32_e32 v9, 0xfffffc10, v9
	s_delay_alu instid0(VALU_DEP_3) | instskip(NEXT) | instid1(VALU_DEP_3)
	v_or_b32_e32 v3, 0x1000, v0
	v_med3_i32 v2, v2, 0, 13
	s_delay_alu instid0(VALU_DEP_1) | instskip(NEXT) | instid1(VALU_DEP_1)
	v_lshrrev_b32_e32 v21, v2, v3
	v_lshlrev_b32_e32 v2, v2, v21
	s_delay_alu instid0(VALU_DEP_1) | instskip(SKIP_1) | instid1(VALU_DEP_1)
	v_cmp_ne_u32_e32 vcc_lo, v2, v3
	v_cvt_f32_f16_e32 v2, v17
	v_cvt_f64_f32_e32 v[2:3], v2
	s_delay_alu instid0(VALU_DEP_1) | instskip(NEXT) | instid1(VALU_DEP_1)
	v_mul_f64 v[12:13], v[2:3], s[10:11]
	v_and_or_b32 v2, 0x1ff, v13, v12
	v_lshrrev_b32_e32 v3, 8, v13
	v_bfe_u32 v22, v13, 20, 11
	v_lshrrev_b32_e32 v12, 16, v11
	s_delay_alu instid0(VALU_DEP_4) | instskip(NEXT) | instid1(VALU_DEP_1)
	v_cmp_ne_u32_e64 s0, 0, v2
	v_cndmask_b32_e64 v2, 0, 1, s0
	s_delay_alu instid0(VALU_DEP_1) | instskip(SKIP_2) | instid1(VALU_DEP_3)
	v_and_or_b32 v6, 0xffe, v3, v2
	v_sub_nc_u32_e32 v2, 0x3f1, v22
	v_add_nc_u32_e32 v22, 0xfffffc10, v22
	v_or_b32_e32 v3, 0x1000, v6
	s_delay_alu instid0(VALU_DEP_3) | instskip(NEXT) | instid1(VALU_DEP_1)
	v_med3_i32 v2, v2, 0, 13
	v_lshrrev_b32_e32 v23, v2, v3
	s_delay_alu instid0(VALU_DEP_1) | instskip(NEXT) | instid1(VALU_DEP_1)
	v_lshlrev_b32_e32 v2, v2, v23
	v_cmp_ne_u32_e64 s0, v2, v3
	scratch_load_b32 v2, off, off offset:56 ; 4-byte Folded Reload
	s_waitcnt vmcnt(0)
	v_mul_f16_e32 v31, v2, v12
	s_delay_alu instid0(VALU_DEP_1) | instskip(SKIP_2) | instid1(VALU_DEP_1)
	v_fmac_f16_e32 v31, v34, v11
	v_mul_f16_e32 v11, v2, v11
	v_cvt_f32_f16_e32 v2, v18
	v_cvt_f64_f32_e32 v[2:3], v2
	s_delay_alu instid0(VALU_DEP_1) | instskip(NEXT) | instid1(VALU_DEP_1)
	v_mul_f64 v[17:18], v[2:3], s[10:11]
	v_and_or_b32 v2, 0x1ff, v18, v17
	v_lshrrev_b32_e32 v3, 8, v18
	v_bfe_u32 v32, v18, 20, 11
	v_fma_f16 v17, v34, v12, -v11
	s_delay_alu instid0(VALU_DEP_4) | instskip(NEXT) | instid1(VALU_DEP_1)
	v_cmp_ne_u32_e64 s1, 0, v2
	v_cndmask_b32_e64 v2, 0, 1, s1
	s_delay_alu instid0(VALU_DEP_1) | instskip(SKIP_1) | instid1(VALU_DEP_2)
	v_and_or_b32 v24, 0xffe, v3, v2
	v_sub_nc_u32_e32 v2, 0x3f1, v32
	v_or_b32_e32 v3, 0x1000, v24
	s_delay_alu instid0(VALU_DEP_2) | instskip(NEXT) | instid1(VALU_DEP_1)
	v_med3_i32 v2, v2, 0, 13
	v_lshrrev_b32_e32 v33, v2, v3
	s_delay_alu instid0(VALU_DEP_1) | instskip(NEXT) | instid1(VALU_DEP_1)
	v_lshlrev_b32_e32 v2, v2, v33
	v_cmp_ne_u32_e64 s1, v2, v3
	v_cvt_f32_f16_e32 v2, v26
	s_delay_alu instid0(VALU_DEP_1) | instskip(NEXT) | instid1(VALU_DEP_1)
	v_cvt_f64_f32_e32 v[2:3], v2
	v_mul_f64 v[2:3], v[2:3], s[10:11]
	s_delay_alu instid0(VALU_DEP_1) | instskip(SKIP_1) | instid1(VALU_DEP_2)
	v_and_or_b32 v2, 0x1ff, v3, v2
	v_lshrrev_b32_e32 v11, 8, v3
	v_cmp_ne_u32_e64 s3, 0, v2
	s_delay_alu instid0(VALU_DEP_1) | instskip(NEXT) | instid1(VALU_DEP_1)
	v_cndmask_b32_e64 v2, 0, 1, s3
	v_and_or_b32 v2, 0xffe, v11, v2
	v_bfe_u32 v11, v3, 20, 11
	v_lshrrev_b32_e32 v3, 16, v3
	s_delay_alu instid0(VALU_DEP_3) | instskip(NEXT) | instid1(VALU_DEP_3)
	v_or_b32_e32 v26, 0x1000, v2
	v_sub_nc_u32_e32 v12, 0x3f1, v11
	v_add_nc_u32_e32 v11, 0xfffffc10, v11
	v_cmp_ne_u32_e64 s4, 0, v2
	s_delay_alu instid0(VALU_DEP_3) | instskip(NEXT) | instid1(VALU_DEP_1)
	v_med3_i32 v12, v12, 0, 13
	v_lshrrev_b32_e32 v34, v12, v26
	s_delay_alu instid0(VALU_DEP_1) | instskip(NEXT) | instid1(VALU_DEP_1)
	v_lshlrev_b32_e32 v12, v12, v34
	v_cmp_ne_u32_e64 s3, v12, v26
	v_lshl_or_b32 v26, v11, 12, v2
	s_delay_alu instid0(VALU_DEP_2) | instskip(SKIP_1) | instid1(VALU_DEP_2)
	v_cndmask_b32_e64 v12, 0, 1, s3
	v_cmp_gt_i32_e64 s3, 1, v11
	v_or_b32_e32 v12, v34, v12
	scratch_load_b32 v34, off, off offset:240 ; 4-byte Folded Reload
	v_cndmask_b32_e64 v12, v26, v12, s3
	v_cndmask_b32_e64 v26, 0, 1, s2
	v_cmp_gt_i32_e64 s2, 1, v28
	s_delay_alu instid0(VALU_DEP_2) | instskip(SKIP_1) | instid1(VALU_DEP_1)
	v_or_b32_e32 v26, v29, v26
	v_lshl_or_b32 v29, v28, 12, v27
	v_cndmask_b32_e64 v26, v29, v26, s2
	v_and_b32_e32 v29, 7, v12
	s_delay_alu instid0(VALU_DEP_2) | instskip(NEXT) | instid1(VALU_DEP_2)
	v_and_b32_e32 v2, 7, v26
	v_cmp_lt_i32_e64 s2, 5, v29
	v_cmp_eq_u32_e64 s3, 3, v29
	s_delay_alu instid0(VALU_DEP_3) | instskip(SKIP_2) | instid1(VALU_DEP_4)
	v_cmp_lt_i32_e64 s5, 5, v2
	v_cmp_eq_u32_e64 s6, 3, v2
	v_lshrrev_b32_e32 v2, 2, v12
	s_or_b32 s2, s3, s2
	v_cndmask_b32_e64 v12, 0, 1, s4
	s_delay_alu instid0(VALU_DEP_2) | instskip(SKIP_1) | instid1(VALU_DEP_3)
	v_add_co_ci_u32_e64 v2, s2, 0, v2, s2
	v_cmp_gt_i32_e64 s2, 31, v11
	v_lshl_or_b32 v12, v12, 9, 0x7c00
	s_delay_alu instid0(VALU_DEP_2) | instskip(SKIP_2) | instid1(VALU_DEP_2)
	v_cndmask_b32_e64 v2, 0x7c00, v2, s2
	v_cmp_eq_u32_e64 s2, 0x40f, v11
	v_lshrrev_b32_e32 v11, 2, v26
	v_cndmask_b32_e64 v2, v2, v12, s2
	s_or_b32 s2, s6, s5
	v_cndmask_b32_e64 v12, 0, 1, s7
	s_delay_alu instid0(VALU_DEP_3) | instskip(SKIP_2) | instid1(VALU_DEP_4)
	v_add_co_ci_u32_e64 v11, s2, 0, v11, s2
	v_cmp_gt_i32_e64 s2, 31, v28
	v_and_or_b32 v2, 0x8000, v3, v2
	v_lshl_or_b32 v12, v12, 9, 0x7c00
	v_cmp_ne_u32_e64 s6, 0, v6
	s_delay_alu instid0(VALU_DEP_4) | instskip(SKIP_2) | instid1(VALU_DEP_2)
	v_cndmask_b32_e64 v11, 0x7c00, v11, s2
	v_cmp_eq_u32_e64 s2, 0x40f, v28
	v_and_b32_e32 v2, 0xffff, v2
	v_cndmask_b32_e64 v11, v11, v12, s2
	v_lshrrev_b32_e32 v12, 16, v25
	s_mul_i32 s2, s9, 0xffffdd80
	s_delay_alu instid0(SALU_CYCLE_1) | instskip(NEXT) | instid1(VALU_DEP_1)
	s_sub_i32 s2, s2, s8
	v_and_or_b32 v3, 0x8000, v12, v11
	s_delay_alu instid0(VALU_DEP_1) | instskip(SKIP_1) | instid1(VALU_DEP_1)
	v_lshl_or_b32 v11, v3, 16, v2
	v_mad_u64_u32 v[2:3], null, 0xffffdd80, s8, v[15:16]
	v_add_nc_u32_e32 v3, s2, v3
	global_store_b32 v[2:3], v11, off
	v_cvt_f32_f16_e32 v11, v30
	v_add_co_u32 v2, s2, v2, s13
	s_delay_alu instid0(VALU_DEP_1) | instskip(NEXT) | instid1(VALU_DEP_3)
	v_add_co_ci_u32_e64 v3, s2, s12, v3, s2
	v_cvt_f64_f32_e32 v[11:12], v11
	s_delay_alu instid0(VALU_DEP_1) | instskip(NEXT) | instid1(VALU_DEP_1)
	v_mul_f64 v[15:16], v[11:12], s[10:11]
	v_and_or_b32 v11, 0x1ff, v16, v15
	v_lshrrev_b32_e32 v12, 8, v16
	v_bfe_u32 v28, v16, 20, 11
	scratch_load_b32 v15, off, off offset:44 ; 4-byte Folded Reload
	v_lshrrev_b32_e32 v16, 16, v16
	v_cmp_ne_u32_e64 s2, 0, v11
	s_delay_alu instid0(VALU_DEP_1) | instskip(NEXT) | instid1(VALU_DEP_1)
	v_cndmask_b32_e64 v11, 0, 1, s2
	v_and_or_b32 v27, 0xffe, v12, v11
	v_sub_nc_u32_e32 v11, 0x3f1, v28
	s_delay_alu instid0(VALU_DEP_2) | instskip(NEXT) | instid1(VALU_DEP_2)
	v_or_b32_e32 v12, 0x1000, v27
	v_med3_i32 v11, v11, 0, 13
	s_delay_alu instid0(VALU_DEP_1) | instskip(NEXT) | instid1(VALU_DEP_1)
	v_lshrrev_b32_e32 v29, v11, v12
	v_lshlrev_b32_e32 v11, v11, v29
	s_delay_alu instid0(VALU_DEP_1)
	v_cmp_ne_u32_e64 s2, v11, v12
	scratch_load_b32 v12, off, off offset:48 ; 4-byte Folded Reload
	v_lshrrev_b32_e32 v11, 16, v4
	s_waitcnt vmcnt(2)
	v_mad_u64_u32 v[25:26], null, s8, v34, 0
	s_waitcnt vmcnt(0)
	s_delay_alu instid0(VALU_DEP_2) | instskip(SKIP_1) | instid1(VALU_DEP_2)
	v_mul_f16_e32 v30, v12, v11
	v_mul_f16_e32 v12, v12, v4
	v_fmac_f16_e32 v30, v15, v4
	s_delay_alu instid0(VALU_DEP_4) | instskip(NEXT) | instid1(VALU_DEP_3)
	v_mov_b32_e32 v4, v26
	v_fma_f16 v15, v15, v11, -v12
	s_delay_alu instid0(VALU_DEP_2) | instskip(SKIP_1) | instid1(VALU_DEP_3)
	v_mad_u64_u32 v[11:12], null, s9, v34, v[4:5]
	v_cvt_f32_f16_e32 v4, v31
	v_cvt_f32_f16_e32 v15, v15
	s_delay_alu instid0(VALU_DEP_3) | instskip(NEXT) | instid1(VALU_DEP_3)
	v_mov_b32_e32 v26, v11
	v_cvt_f64_f32_e32 v[11:12], v4
	s_delay_alu instid0(VALU_DEP_1) | instskip(NEXT) | instid1(VALU_DEP_1)
	v_mul_f64 v[11:12], v[11:12], s[10:11]
	v_and_or_b32 v4, 0x1ff, v12, v11
	v_lshrrev_b32_e32 v11, 8, v12
	s_delay_alu instid0(VALU_DEP_2) | instskip(NEXT) | instid1(VALU_DEP_1)
	v_cmp_ne_u32_e64 s3, 0, v4
	v_cndmask_b32_e64 v4, 0, 1, s3
	v_cmp_ne_u32_e64 s3, 0, v0
	s_delay_alu instid0(VALU_DEP_2) | instskip(SKIP_2) | instid1(VALU_DEP_2)
	v_and_or_b32 v4, 0xffe, v11, v4
	v_cndmask_b32_e64 v11, 0, 1, vcc_lo
	v_cmp_gt_i32_e32 vcc_lo, 1, v9
	v_or_b32_e32 v11, v21, v11
	v_lshl_or_b32 v21, v9, 12, v0
	s_delay_alu instid0(VALU_DEP_1) | instskip(SKIP_2) | instid1(VALU_DEP_2)
	v_cndmask_b32_e32 v11, v21, v11, vcc_lo
	v_cndmask_b32_e64 v21, 0, 1, s0
	v_cmp_gt_i32_e32 vcc_lo, 1, v22
	v_or_b32_e32 v21, v23, v21
	v_lshl_or_b32 v23, v22, 12, v6
	v_cndmask_b32_e64 v6, 0, 1, s3
	s_delay_alu instid0(VALU_DEP_2) | instskip(SKIP_1) | instid1(VALU_DEP_3)
	v_cndmask_b32_e32 v21, v23, v21, vcc_lo
	v_and_b32_e32 v23, 7, v11
	v_lshl_or_b32 v6, v6, 9, 0x7c00
	s_delay_alu instid0(VALU_DEP_3) | instskip(NEXT) | instid1(VALU_DEP_3)
	v_and_b32_e32 v0, 7, v21
	v_cmp_lt_i32_e32 vcc_lo, 5, v23
	v_cmp_eq_u32_e64 s0, 3, v23
	s_delay_alu instid0(VALU_DEP_3) | instskip(SKIP_2) | instid1(VALU_DEP_4)
	v_cmp_lt_i32_e64 s4, 5, v0
	v_cmp_eq_u32_e64 s5, 3, v0
	v_lshrrev_b32_e32 v0, 2, v11
	s_or_b32 vcc_lo, s0, vcc_lo
	v_add_nc_u32_e32 v11, 0xfffffc10, v32
	v_lshrrev_b32_e32 v32, 16, v13
	s_delay_alu instid0(VALU_DEP_3) | instskip(SKIP_1) | instid1(VALU_DEP_2)
	v_add_co_ci_u32_e32 v0, vcc_lo, 0, v0, vcc_lo
	v_cmp_gt_i32_e32 vcc_lo, 31, v9
	v_cndmask_b32_e32 v0, 0x7c00, v0, vcc_lo
	v_cmp_eq_u32_e32 vcc_lo, 0x40f, v9
	v_cndmask_b32_e64 v9, 0, 1, s1
	v_cmp_ne_u32_e64 s1, 0, v24
	s_delay_alu instid0(VALU_DEP_4) | instskip(SKIP_1) | instid1(VALU_DEP_4)
	v_cndmask_b32_e32 v0, v0, v6, vcc_lo
	v_lshrrev_b32_e32 v6, 16, v14
	v_or_b32_e32 v9, v33, v9
	v_lshl_or_b32 v14, v11, 12, v24
	v_cmp_gt_i32_e32 vcc_lo, 1, v11
	v_lshlrev_b64 v[23:24], 2, v[25:26]
	v_and_or_b32 v0, 0x8000, v6, v0
	s_delay_alu instid0(VALU_DEP_4)
	v_cndmask_b32_e32 v9, v14, v9, vcc_lo
	v_lshrrev_b32_e32 v14, 2, v21
	s_or_b32 vcc_lo, s5, s4
	v_cndmask_b32_e64 v21, 0, 1, s6
	v_and_b32_e32 v0, 0xffff, v0
	v_and_b32_e32 v6, 7, v9
	v_add_co_ci_u32_e32 v14, vcc_lo, 0, v14, vcc_lo
	v_cmp_gt_i32_e32 vcc_lo, 31, v22
	v_lshl_or_b32 v21, v21, 9, 0x7c00
	s_delay_alu instid0(VALU_DEP_4) | instskip(SKIP_3) | instid1(VALU_DEP_2)
	v_cmp_eq_u32_e64 s0, 3, v6
	v_lshrrev_b32_e32 v9, 2, v9
	v_cndmask_b32_e32 v14, 0x7c00, v14, vcc_lo
	v_cmp_eq_u32_e32 vcc_lo, 0x40f, v22
	v_cndmask_b32_e32 v31, v14, v21, vcc_lo
	v_cmp_lt_i32_e32 vcc_lo, 5, v6
	v_cndmask_b32_e64 v6, 0, 1, s2
	v_add_nc_u32_e32 v21, 0xfffffc10, v28
	v_lshrrev_b32_e32 v28, 16, v18
	s_or_b32 vcc_lo, s0, vcc_lo
	s_delay_alu instid0(VALU_DEP_3) | instskip(NEXT) | instid1(VALU_DEP_3)
	v_or_b32_e32 v6, v29, v6
	v_lshl_or_b32 v13, v21, 12, v27
	v_cmp_gt_i32_e64 s2, 1, v21
	v_add_co_ci_u32_e32 v9, vcc_lo, 0, v9, vcc_lo
	v_cmp_gt_i32_e32 vcc_lo, 31, v11
	scratch_load_b32 v29, off, off offset:40 ; 4-byte Folded Reload
	v_cndmask_b32_e64 v6, v13, v6, s2
	v_cndmask_b32_e64 v13, 0, 1, s1
	v_cndmask_b32_e32 v9, 0x7c00, v9, vcc_lo
	v_cmp_eq_u32_e32 vcc_lo, 0x40f, v11
	s_delay_alu instid0(VALU_DEP_4) | instskip(NEXT) | instid1(VALU_DEP_4)
	v_and_b32_e32 v11, 7, v6
	v_lshl_or_b32 v13, v13, 9, 0x7c00
	v_lshrrev_b32_e32 v6, 2, v6
	s_delay_alu instid0(VALU_DEP_3) | instskip(NEXT) | instid1(VALU_DEP_3)
	v_cmp_eq_u32_e64 s0, 3, v11
	v_cndmask_b32_e32 v9, v9, v13, vcc_lo
	v_cmp_lt_i32_e32 vcc_lo, 5, v11
	v_cvt_f32_f16_e32 v11, v17
	v_cvt_f32_f16_e32 v17, v30
	s_delay_alu instid0(VALU_DEP_4)
	v_and_or_b32 v9, 0x8000, v28, v9
	scratch_load_b32 v28, off, off offset:36 ; 4-byte Folded Reload
	v_cvt_f64_f32_e32 v[13:14], v11
	s_or_b32 vcc_lo, s0, vcc_lo
	v_cvt_f64_f32_e32 v[17:18], v17
	v_add_co_ci_u32_e32 v6, vcc_lo, 0, v6, vcc_lo
	v_cmp_ne_u32_e32 vcc_lo, 0, v27
	v_and_b32_e32 v9, 0xffff, v9
	v_cndmask_b32_e64 v11, 0, 1, vcc_lo
	v_cmp_gt_i32_e32 vcc_lo, 31, v21
	s_delay_alu instid0(VALU_DEP_2) | instskip(SKIP_2) | instid1(VALU_DEP_2)
	v_lshl_or_b32 v11, v11, 9, 0x7c00
	v_cndmask_b32_e32 v6, 0x7c00, v6, vcc_lo
	v_cmp_eq_u32_e32 vcc_lo, 0x40f, v21
	v_cndmask_b32_e32 v6, v6, v11, vcc_lo
	v_bfe_u32 v11, v12, 20, 11
	s_delay_alu instid0(VALU_DEP_2) | instskip(SKIP_1) | instid1(VALU_DEP_2)
	v_and_or_b32 v6, 0x8000, v16, v6
	v_add_co_u32 v16, vcc_lo, v20, v23
	v_lshl_or_b32 v6, v6, 16, v9
	v_mul_f64 v[21:22], v[13:14], s[10:11]
	v_sub_nc_u32_e32 v13, 0x3f1, v11
	v_add_nc_u32_e32 v11, 0xfffffc10, v11
	s_delay_alu instid0(VALU_DEP_2)
	v_med3_i32 v27, v13, 0, 13
	v_mul_f64 v[13:14], v[17:18], s[10:11]
	v_and_or_b32 v18, 0x8000, v32, v31
	v_add_co_ci_u32_e32 v17, vcc_lo, v19, v24, vcc_lo
	v_or_b32_e32 v24, 0x1000, v4
	scratch_load_b32 v32, off, off offset:24 ; 4-byte Folded Reload
	v_lshl_or_b32 v0, v18, 16, v0
	global_store_b32 v[2:3], v0, off
	global_store_b32 v[16:17], v6, off
	v_lshrrev_b32_e32 v6, v27, v24
	v_add_co_u32 v2, s3, v2, s15
	s_delay_alu instid0(VALU_DEP_1) | instskip(NEXT) | instid1(VALU_DEP_3)
	v_add_co_ci_u32_e64 v3, s3, s14, v3, s3
	v_lshlrev_b32_e32 v16, v27, v6
	s_delay_alu instid0(VALU_DEP_1) | instskip(SKIP_4) | instid1(VALU_DEP_4)
	v_cmp_ne_u32_e64 s0, v16, v24
	v_and_or_b32 v21, 0x1ff, v22, v21
	v_lshrrev_b32_e32 v18, 8, v22
	v_bfe_u32 v23, v22, 20, 11
	v_lshrrev_b32_e32 v22, 16, v22
	v_cmp_ne_u32_e32 vcc_lo, 0, v21
	v_lshrrev_b32_e32 v21, 16, v8
	v_cndmask_b32_e64 v9, 0, 1, vcc_lo
	s_delay_alu instid0(VALU_DEP_1) | instskip(SKIP_1) | instid1(VALU_DEP_2)
	v_and_or_b32 v25, 0xffe, v18, v9
	v_sub_nc_u32_e32 v9, 0x3f1, v23
	v_or_b32_e32 v18, 0x1000, v25
	s_delay_alu instid0(VALU_DEP_2) | instskip(NEXT) | instid1(VALU_DEP_1)
	v_med3_i32 v9, v9, 0, 13
	v_lshrrev_b32_e32 v26, v9, v18
	s_waitcnt vmcnt(2)
	v_mul_f16_e32 v0, v29, v21
	s_waitcnt vmcnt(1)
	s_delay_alu instid0(VALU_DEP_1) | instskip(NEXT) | instid1(VALU_DEP_1)
	v_fmac_f16_e32 v0, v28, v8
	v_cvt_f32_f16_e32 v0, v0
	s_delay_alu instid0(VALU_DEP_1) | instskip(SKIP_3) | instid1(VALU_DEP_3)
	v_cvt_f64_f32_e32 v[16:17], v0
	v_lshlrev_b32_e32 v0, v9, v26
	v_and_or_b32 v9, 0x1ff, v14, v13
	v_bfe_u32 v13, v14, 20, 11
	v_cmp_ne_u32_e64 s1, v0, v18
	s_delay_alu instid0(VALU_DEP_3)
	v_cmp_ne_u32_e32 vcc_lo, 0, v9
	v_lshrrev_b32_e32 v9, 8, v14
	v_mul_f16_e32 v18, v29, v8
	scratch_load_b32 v29, off, off offset:28 ; 4-byte Folded Reload
	v_lshrrev_b32_e32 v14, 16, v14
	v_cndmask_b32_e64 v0, 0, 1, vcc_lo
	s_delay_alu instid0(VALU_DEP_1) | instskip(SKIP_2) | instid1(VALU_DEP_3)
	v_and_or_b32 v24, 0xffe, v9, v0
	v_sub_nc_u32_e32 v0, 0x3f1, v13
	v_add_nc_u32_e32 v13, 0xfffffc10, v13
	v_or_b32_e32 v8, 0x1000, v24
	s_delay_alu instid0(VALU_DEP_3) | instskip(NEXT) | instid1(VALU_DEP_1)
	v_med3_i32 v0, v0, 0, 13
	v_lshrrev_b32_e32 v27, v0, v8
	s_delay_alu instid0(VALU_DEP_1) | instskip(NEXT) | instid1(VALU_DEP_1)
	v_lshlrev_b32_e32 v0, v0, v27
	v_cmp_ne_u32_e64 s2, v0, v8
	v_mul_f64 v[8:9], v[16:17], s[10:11]
	v_fma_f16 v17, v28, v21, -v18
	scratch_load_b32 v18, off, off offset:32 ; 4-byte Folded Reload
	v_cvt_f64_f32_e32 v[15:16], v15
	v_lshrrev_b32_e32 v0, 16, v1
	v_and_or_b32 v8, 0x1ff, v9, v8
	v_bfe_u32 v28, v9, 20, 11
	s_delay_alu instid0(VALU_DEP_4) | instskip(NEXT) | instid1(VALU_DEP_3)
	v_mul_f64 v[15:16], v[15:16], s[10:11]
	v_cmp_ne_u32_e32 vcc_lo, 0, v8
	v_lshrrev_b32_e32 v8, 8, v9
	v_lshrrev_b32_e32 v9, 16, v9
	s_waitcnt vmcnt(0)
	v_mul_f16_e32 v21, v18, v0
	v_mul_f16_e32 v18, v18, v1
	s_delay_alu instid0(VALU_DEP_2) | instskip(SKIP_1) | instid1(VALU_DEP_3)
	v_fmac_f16_e32 v21, v29, v1
	v_cndmask_b32_e64 v1, 0, 1, vcc_lo
	v_fma_f16 v29, v29, v0, -v18
	s_delay_alu instid0(VALU_DEP_2) | instskip(SKIP_2) | instid1(VALU_DEP_2)
	v_and_or_b32 v8, 0xffe, v8, v1
	v_sub_nc_u32_e32 v1, 0x3f1, v28
	v_add_nc_u32_e32 v28, 0xfffffc10, v28
	v_med3_i32 v0, v1, 0, 13
	s_delay_alu instid0(VALU_DEP_4) | instskip(NEXT) | instid1(VALU_DEP_1)
	v_or_b32_e32 v1, 0x1000, v8
	v_lshrrev_b32_e32 v30, v0, v1
	s_delay_alu instid0(VALU_DEP_1) | instskip(NEXT) | instid1(VALU_DEP_1)
	v_lshlrev_b32_e32 v0, v0, v30
	v_cmp_ne_u32_e32 vcc_lo, v0, v1
	v_and_or_b32 v0, 0x1ff, v16, v15
	v_lshrrev_b32_e32 v1, 8, v16
	v_cvt_f32_f16_e32 v15, v17
	s_delay_alu instid0(VALU_DEP_3) | instskip(NEXT) | instid1(VALU_DEP_1)
	v_cmp_ne_u32_e64 s3, 0, v0
	v_cndmask_b32_e64 v0, 0, 1, s3
	s_delay_alu instid0(VALU_DEP_1) | instskip(NEXT) | instid1(VALU_DEP_4)
	v_and_or_b32 v31, 0xffe, v1, v0
	v_cvt_f64_f32_e32 v[0:1], v15
	s_delay_alu instid0(VALU_DEP_1) | instskip(NEXT) | instid1(VALU_DEP_1)
	v_mul_f64 v[17:18], v[0:1], s[10:11]
	v_and_or_b32 v0, 0x1ff, v18, v17
	v_lshrrev_b32_e32 v1, 8, v18
	s_delay_alu instid0(VALU_DEP_2) | instskip(NEXT) | instid1(VALU_DEP_1)
	v_cmp_ne_u32_e64 s3, 0, v0
	v_cndmask_b32_e64 v0, 0, 1, s3
	s_delay_alu instid0(VALU_DEP_1) | instskip(SKIP_2) | instid1(VALU_DEP_2)
	v_and_or_b32 v15, 0xffe, v1, v0
	v_cvt_f32_f16_e32 v0, v21
	v_add_nc_u32_e32 v21, 0xfffffc10, v23
	v_cvt_f64_f32_e32 v[0:1], v0
	s_delay_alu instid0(VALU_DEP_2) | instskip(NEXT) | instid1(VALU_DEP_2)
	v_lshl_or_b32 v23, v21, 12, v25
	v_mul_f64 v[0:1], v[0:1], s[10:11]
	s_delay_alu instid0(VALU_DEP_1) | instskip(SKIP_1) | instid1(VALU_DEP_2)
	v_and_or_b32 v0, 0x1ff, v1, v0
	v_lshrrev_b32_e32 v17, 8, v1
	v_cmp_ne_u32_e64 s3, 0, v0
	s_delay_alu instid0(VALU_DEP_1) | instskip(SKIP_1) | instid1(VALU_DEP_2)
	v_cndmask_b32_e64 v0, 0, 1, s3
	v_cmp_ne_u32_e64 s3, 0, v4
	v_and_or_b32 v0, 0xffe, v17, v0
	v_cndmask_b32_e64 v17, 0, 1, s0
	v_cmp_gt_i32_e64 s0, 1, v11
	s_delay_alu instid0(VALU_DEP_2) | instskip(SKIP_1) | instid1(VALU_DEP_1)
	v_or_b32_e32 v6, v6, v17
	v_lshl_or_b32 v17, v11, 12, v4
	v_cndmask_b32_e64 v6, v17, v6, s0
	v_cndmask_b32_e64 v17, 0, 1, s1
	v_cmp_gt_i32_e64 s0, 1, v21
	s_delay_alu instid0(VALU_DEP_2) | instskip(NEXT) | instid1(VALU_DEP_1)
	v_or_b32_e32 v17, v26, v17
	v_cndmask_b32_e64 v17, v23, v17, s0
	v_and_b32_e32 v23, 7, v6
	s_delay_alu instid0(VALU_DEP_2) | instskip(NEXT) | instid1(VALU_DEP_2)
	v_and_b32_e32 v4, 7, v17
	v_cmp_lt_i32_e64 s0, 5, v23
	v_cmp_eq_u32_e64 s1, 3, v23
	v_lshl_or_b32 v23, v13, 12, v24
	s_delay_alu instid0(VALU_DEP_4) | instskip(SKIP_4) | instid1(VALU_DEP_2)
	v_cmp_lt_i32_e64 s4, 5, v4
	v_cmp_eq_u32_e64 s5, 3, v4
	v_lshrrev_b32_e32 v4, 2, v6
	s_or_b32 s0, s1, s0
	v_cndmask_b32_e64 v6, 0, 1, s3
	v_add_co_ci_u32_e64 v4, s0, 0, v4, s0
	v_cmp_gt_i32_e64 s0, 31, v11
	s_delay_alu instid0(VALU_DEP_3) | instskip(NEXT) | instid1(VALU_DEP_2)
	v_lshl_or_b32 v6, v6, 9, 0x7c00
	v_cndmask_b32_e64 v4, 0x7c00, v4, s0
	v_cmp_eq_u32_e64 s0, 0x40f, v11
	v_cndmask_b32_e64 v11, 0, 1, s2
	s_delay_alu instid0(VALU_DEP_2) | instskip(SKIP_4) | instid1(VALU_DEP_3)
	v_cndmask_b32_e64 v4, v4, v6, s0
	v_lshrrev_b32_e32 v6, 16, v12
	v_lshrrev_b32_e32 v12, 2, v17
	s_or_b32 s0, s5, s4
	v_or_b32_e32 v11, v27, v11
	v_and_or_b32 v4, 0x8000, v6, v4
	s_delay_alu instid0(VALU_DEP_3) | instskip(SKIP_2) | instid1(VALU_DEP_4)
	v_add_co_ci_u32_e64 v12, s0, 0, v12, s0
	v_cmp_ne_u32_e64 s0, 0, v25
	v_cvt_f32_f16_e32 v25, v29
	v_and_b32_e32 v4, 0xffff, v4
	s_delay_alu instid0(VALU_DEP_3) | instskip(SKIP_1) | instid1(VALU_DEP_2)
	v_cndmask_b32_e64 v17, 0, 1, s0
	v_cmp_gt_i32_e64 s0, 31, v21
	v_lshl_or_b32 v17, v17, 9, 0x7c00
	s_delay_alu instid0(VALU_DEP_2) | instskip(SKIP_2) | instid1(VALU_DEP_2)
	v_cndmask_b32_e64 v12, 0x7c00, v12, s0
	v_cmp_eq_u32_e64 s0, 0x40f, v21
	v_bfe_u32 v21, v16, 20, 11
	v_cndmask_b32_e64 v12, v12, v17, s0
	s_delay_alu instid0(VALU_DEP_2) | instskip(SKIP_2) | instid1(VALU_DEP_4)
	v_sub_nc_u32_e32 v17, 0x3f1, v21
	v_cmp_gt_i32_e64 s0, 1, v13
	v_add_nc_u32_e32 v21, 0xfffffc10, v21
	v_and_or_b32 v22, 0x8000, v22, v12
	s_delay_alu instid0(VALU_DEP_4) | instskip(NEXT) | instid1(VALU_DEP_4)
	v_med3_i32 v17, v17, 0, 13
	v_cndmask_b32_e64 v11, v23, v11, s0
	v_or_b32_e32 v23, 0x1000, v31
	v_cmp_gt_i32_e64 s2, 1, v21
	v_lshl_or_b32 v4, v22, 16, v4
	s_delay_alu instid0(VALU_DEP_4) | instskip(NEXT) | instid1(VALU_DEP_4)
	v_and_b32_e32 v12, 7, v11
	v_lshrrev_b32_e32 v6, v17, v23
	v_lshrrev_b32_e32 v11, 2, v11
	s_delay_alu instid0(VALU_DEP_3) | instskip(NEXT) | instid1(VALU_DEP_3)
	v_cmp_eq_u32_e64 s1, 3, v12
	v_lshlrev_b32_e32 v17, v17, v6
	s_delay_alu instid0(VALU_DEP_1) | instskip(SKIP_1) | instid1(VALU_DEP_2)
	v_cmp_ne_u32_e64 s0, v17, v23
	v_bfe_u32 v23, v18, 20, 11
	v_cndmask_b32_e64 v17, 0, 1, s0
	v_cmp_lt_i32_e64 s0, 5, v12
	v_lshl_or_b32 v12, v21, 12, v31
	s_delay_alu instid0(VALU_DEP_3) | instskip(NEXT) | instid1(VALU_DEP_3)
	v_or_b32_e32 v6, v6, v17
	s_or_b32 s0, s1, s0
	v_sub_nc_u32_e32 v17, 0x3f1, v23
	v_add_co_ci_u32_e64 v26, s0, 0, v11, s0
	v_cmp_ne_u32_e64 s0, 0, v24
	v_cndmask_b32_e64 v6, v12, v6, s2
	v_cvt_f64_f32_e32 v[11:12], v25
	v_med3_i32 v17, v17, 0, 13
	s_delay_alu instid0(VALU_DEP_4) | instskip(SKIP_3) | instid1(VALU_DEP_4)
	v_cndmask_b32_e64 v24, 0, 1, s0
	v_cmp_gt_i32_e64 s0, 31, v13
	v_and_b32_e32 v22, 7, v6
	v_lshrrev_b32_e32 v6, 2, v6
	v_lshl_or_b32 v24, v24, 9, 0x7c00
	s_delay_alu instid0(VALU_DEP_4) | instskip(SKIP_3) | instid1(VALU_DEP_3)
	v_cndmask_b32_e64 v25, 0x7c00, v26, s0
	v_cmp_eq_u32_e64 s0, 0x40f, v13
	v_cmp_eq_u32_e64 s1, 3, v22
	v_or_b32_e32 v13, 0x1000, v15
	v_cndmask_b32_e64 v24, v25, v24, s0
	v_cmp_lt_i32_e64 s0, 5, v22
	s_delay_alu instid0(VALU_DEP_3) | instskip(SKIP_1) | instid1(VALU_DEP_4)
	v_lshrrev_b32_e32 v22, v17, v13
	v_bfe_u32 v25, v1, 20, 11
	v_and_or_b32 v24, 0x8000, v14, v24
	s_delay_alu instid0(VALU_DEP_4) | instskip(NEXT) | instid1(VALU_DEP_3)
	s_or_b32 s0, s1, s0
	v_lshlrev_b32_e32 v17, v17, v22
	v_add_co_ci_u32_e64 v6, s0, 0, v6, s0
	v_cmp_ne_u32_e64 s0, 0, v31
	scratch_load_b32 v31, off, off offset:20 ; 4-byte Folded Reload
	v_sub_nc_u32_e32 v26, 0x3f1, v25
	v_cndmask_b32_e64 v27, 0, 1, s0
	v_cmp_gt_i32_e64 s0, 31, v21
	s_delay_alu instid0(VALU_DEP_3) | instskip(NEXT) | instid1(VALU_DEP_3)
	v_med3_i32 v26, v26, 0, 13
	v_lshl_or_b32 v14, v27, 9, 0x7c00
	s_delay_alu instid0(VALU_DEP_3)
	v_cndmask_b32_e64 v6, 0x7c00, v6, s0
	v_cmp_eq_u32_e64 s0, 0x40f, v21
	v_cndmask_b32_e64 v21, 0, 1, vcc_lo
	v_cmp_gt_i32_e32 vcc_lo, 1, v28
	v_mul_f64 v[11:12], v[11:12], s[10:11]
	v_or_b32_e32 v27, 0x1000, v0
	v_cndmask_b32_e64 v6, v6, v14, s0
	v_lshrrev_b32_e32 v14, 16, v16
	v_or_b32_e32 v16, v30, v21
	v_lshl_or_b32 v21, v28, 12, v8
	v_lshrrev_b32_e32 v30, 16, v10
	v_lshrrev_b32_e32 v29, v26, v27
	v_and_or_b32 v6, 0x8000, v14, v6
	s_delay_alu instid0(VALU_DEP_4)
	v_cndmask_b32_e32 v16, v21, v16, vcc_lo
	v_cmp_ne_u32_e32 vcc_lo, v17, v13
	v_add_nc_u32_e32 v17, 0xfffffc10, v23
	v_mul_f16_e32 v21, v32, v30
	v_lshlrev_b32_e32 v26, v26, v29
	v_and_b32_e32 v23, 7, v16
	v_cndmask_b32_e64 v13, 0, 1, vcc_lo
	v_lshrrev_b32_e32 v16, 2, v16
	v_lshl_or_b32 v14, v17, 12, v15
	v_cmp_gt_i32_e64 s1, 1, v17
	v_cmp_lt_i32_e32 vcc_lo, 5, v23
	v_cmp_eq_u32_e64 s0, 3, v23
	v_or_b32_e32 v13, v22, v13
	s_delay_alu instid0(VALU_DEP_2) | instskip(NEXT) | instid1(VALU_DEP_1)
	s_or_b32 vcc_lo, s0, vcc_lo
	v_cndmask_b32_e64 v22, v14, v13, s1
	v_add_co_ci_u32_e32 v16, vcc_lo, 0, v16, vcc_lo
	v_cmp_ne_u32_e32 vcc_lo, 0, v8
	v_cmp_eq_u32_e64 s1, 0x40f, v28
	s_delay_alu instid0(VALU_DEP_4) | instskip(SKIP_2) | instid1(VALU_DEP_3)
	v_and_b32_e32 v23, 7, v22
	v_cndmask_b32_e64 v8, 0, 1, vcc_lo
	v_cmp_gt_i32_e32 vcc_lo, 31, v28
	v_cmp_eq_u32_e64 s0, 3, v23
	v_and_or_b32 v11, 0x1ff, v12, v11
	s_delay_alu instid0(VALU_DEP_4) | instskip(SKIP_2) | instid1(VALU_DEP_2)
	v_lshl_or_b32 v8, v8, 9, 0x7c00
	v_cndmask_b32_e32 v16, 0x7c00, v16, vcc_lo
	v_cmp_lt_i32_e32 vcc_lo, 5, v23
	v_cndmask_b32_e64 v8, v16, v8, s1
	v_lshrrev_b32_e32 v16, 2, v22
	s_or_b32 vcc_lo, s0, vcc_lo
	v_bfe_u32 v22, v12, 20, 11
	s_delay_alu instid0(VALU_DEP_2) | instskip(SKIP_3) | instid1(VALU_DEP_1)
	v_add_co_ci_u32_e32 v16, vcc_lo, 0, v16, vcc_lo
	v_cmp_ne_u32_e32 vcc_lo, 0, v15
	s_waitcnt vmcnt(0)
	v_fmac_f16_e32 v21, v31, v10
	v_cvt_f32_f16_e32 v21, v21
	s_delay_alu instid0(VALU_DEP_1) | instskip(SKIP_3) | instid1(VALU_DEP_3)
	v_cvt_f64_f32_e32 v[13:14], v21
	v_and_b32_e32 v21, 0xffff, v24
	v_add_nc_u32_e32 v24, 0xfffffc10, v25
	v_sub_nc_u32_e32 v25, 0x3f1, v22
	v_lshl_or_b32 v6, v6, 16, v21
	v_and_or_b32 v21, 0x8000, v9, v8
	v_cndmask_b32_e64 v8, 0, 1, vcc_lo
	v_cmp_ne_u32_e32 vcc_lo, 0, v11
	v_mul_f16_e32 v9, v32, v10
	v_lshrrev_b32_e32 v11, 8, v12
	v_med3_i32 v25, v25, 0, 13
	v_and_b32_e32 v21, 0xffff, v21
	v_cndmask_b32_e64 v10, 0, 1, vcc_lo
	v_cmp_gt_i32_e32 vcc_lo, 31, v17
	s_delay_alu instid0(VALU_DEP_2)
	v_and_or_b32 v23, 0xffe, v11, v10
	v_cndmask_b32_e32 v15, 0x7c00, v16, vcc_lo
	v_cmp_ne_u32_e32 vcc_lo, v26, v27
	v_lshl_or_b32 v16, v8, 9, 0x7c00
	v_fma_f16 v11, v31, v30, -v9
	v_or_b32_e32 v26, 0x1000, v23
	v_cndmask_b32_e64 v10, 0, 1, vcc_lo
	v_cmp_eq_u32_e32 vcc_lo, 0x40f, v17
	s_delay_alu instid0(VALU_DEP_3)
	v_lshrrev_b32_e32 v17, v25, v26
	v_cndmask_b32_e32 v15, v15, v16, vcc_lo
	v_cmp_gt_i32_e32 vcc_lo, 1, v24
	v_lshrrev_b32_e32 v16, 16, v18
	v_mul_f64 v[8:9], v[13:14], s[10:11]
	v_or_b32_e32 v13, v29, v10
	v_lshl_or_b32 v14, v24, 12, v0
	s_delay_alu instid0(VALU_DEP_4)
	v_and_or_b32 v15, 0x8000, v16, v15
	v_lshlrev_b32_e32 v16, v25, v17
	v_lshrrev_b32_e32 v25, 16, v5
	v_cvt_f32_f16_e32 v10, v11
	v_cndmask_b32_e32 v18, v14, v13, vcc_lo
	v_add_co_u32 v13, vcc_lo, v2, s13
	v_add_co_ci_u32_e32 v14, vcc_lo, s12, v3, vcc_lo
	global_store_b32 v[2:3], v4, off
	global_store_b32 v[13:14], v6, off
	s_clause 0x2
	scratch_load_b32 v30, off, off offset:16
	scratch_load_b32 v29, off, off offset:12
	scratch_load_b32 v28, off, off
	v_and_b32_e32 v27, 7, v18
	v_cmp_ne_u32_e64 s0, v16, v26
	v_lshrrev_b32_e32 v4, 2, v18
	v_add_nc_u32_e32 v6, 0xfffffc10, v22
	v_cvt_f64_f32_e32 v[10:11], v10
	v_cmp_lt_i32_e32 vcc_lo, 5, v27
	v_cndmask_b32_e64 v3, 0, 1, s0
	v_cmp_eq_u32_e64 s0, 3, v27
	v_lshl_or_b32 v16, v6, 12, v23
	s_delay_alu instid0(VALU_DEP_3) | instskip(NEXT) | instid1(VALU_DEP_3)
	v_or_b32_e32 v3, v17, v3
	s_or_b32 vcc_lo, s0, vcc_lo
	v_add_co_ci_u32_e32 v17, vcc_lo, 0, v4, vcc_lo
	v_cmp_gt_i32_e32 vcc_lo, 1, v6
	v_and_or_b32 v8, 0x1ff, v9, v8
	v_cndmask_b32_e32 v16, v16, v3, vcc_lo
	v_cmp_ne_u32_e32 vcc_lo, 0, v0
	v_lshrrev_b32_e32 v18, 8, v9
	v_cndmask_b32_e64 v0, 0, 1, vcc_lo
	v_cmp_ne_u32_e32 vcc_lo, 0, v8
	s_delay_alu instid0(VALU_DEP_2) | instskip(SKIP_2) | instid1(VALU_DEP_2)
	v_lshl_or_b32 v0, v0, 9, 0x7c00
	v_cndmask_b32_e64 v8, 0, 1, vcc_lo
	v_cmp_gt_i32_e32 vcc_lo, 31, v24
	v_and_or_b32 v18, 0xffe, v18, v8
	v_cndmask_b32_e32 v17, 0x7c00, v17, vcc_lo
	v_mul_f64 v[10:11], v[10:11], s[10:11]
	s_delay_alu instid0(VALU_DEP_3) | instskip(NEXT) | instid1(VALU_DEP_2)
	v_or_b32_e32 v22, 0x1000, v18
	v_and_or_b32 v10, 0x1ff, v11, v10
	s_waitcnt vmcnt(2)
	v_mul_f16_e32 v2, v30, v25
	s_waitcnt vmcnt(1)
	s_delay_alu instid0(VALU_DEP_1) | instskip(SKIP_1) | instid1(VALU_DEP_2)
	v_fmac_f16_e32 v2, v29, v5
	v_mul_f16_e32 v5, v30, v5
	v_cvt_f32_f16_e32 v2, v2
	s_delay_alu instid0(VALU_DEP_1) | instskip(SKIP_3) | instid1(VALU_DEP_2)
	v_cvt_f64_f32_e32 v[3:4], v2
	v_lshl_or_b32 v2, v15, 16, v21
	v_and_b32_e32 v15, 7, v16
	v_bfe_u32 v21, v9, 20, 11
	v_cmp_lt_i32_e32 vcc_lo, 5, v15
	v_cmp_eq_u32_e64 s0, 3, v15
	v_lshrrev_b32_e32 v15, 2, v16
	s_delay_alu instid0(VALU_DEP_4) | instskip(SKIP_1) | instid1(VALU_DEP_4)
	v_sub_nc_u32_e32 v8, 0x3f1, v21
	v_add_nc_u32_e32 v21, 0xfffffc10, v21
	s_or_b32 vcc_lo, s0, vcc_lo
	s_delay_alu instid0(VALU_DEP_3) | instskip(SKIP_4) | instid1(VALU_DEP_3)
	v_add_co_ci_u32_e32 v15, vcc_lo, 0, v15, vcc_lo
	v_cmp_ne_u32_e32 vcc_lo, 0, v23
	v_med3_i32 v8, v8, 0, 13
	v_cndmask_b32_e64 v16, 0, 1, vcc_lo
	v_cmp_eq_u32_e32 vcc_lo, 0x40f, v24
	v_lshrrev_b32_e32 v23, v8, v22
	v_lshrrev_b32_e32 v24, 16, v1
	s_delay_alu instid0(VALU_DEP_4)
	v_lshl_or_b32 v27, v16, 9, 0x7c00
	v_cndmask_b32_e32 v17, v17, v0, vcc_lo
	v_cmp_gt_i32_e32 vcc_lo, 31, v6
	v_lshlrev_b32_e32 v8, v8, v23
	v_cndmask_b32_e32 v26, 0x7c00, v15, vcc_lo
	v_add_co_u32 v0, vcc_lo, v13, s13
	v_add_co_ci_u32_e32 v1, vcc_lo, s12, v14, vcc_lo
	s_delay_alu instid0(VALU_DEP_4)
	v_cmp_ne_u32_e32 vcc_lo, v8, v22
	v_fma_f16 v13, v29, v25, -v5
	scratch_load_b32 v29, off, off offset:8 ; 4-byte Folded Reload
	s_waitcnt vmcnt(1)
	v_mad_u64_u32 v[15:16], null, s8, v28, 0
	v_cndmask_b32_e64 v8, 0, 1, vcc_lo
	v_cmp_eq_u32_e32 vcc_lo, 0x40f, v6
	v_and_or_b32 v14, 0x8000, v24, v17
	v_lshl_or_b32 v17, v21, 12, v18
	v_mul_f64 v[3:4], v[3:4], s[10:11]
	v_or_b32_e32 v8, v23, v8
	v_dual_cndmask_b32 v6, v26, v27 :: v_dual_mov_b32 v5, v16
	v_cmp_gt_i32_e32 vcc_lo, 1, v21
	v_cvt_f32_f16_e32 v13, v13
	v_lshrrev_b32_e32 v22, 16, v12
	v_lshrrev_b32_e32 v23, 8, v11
	;; [unrolled: 1-line block ×3, first 2 shown]
	v_cndmask_b32_e32 v8, v17, v8, vcc_lo
	v_mad_u64_u32 v[16:17], null, s9, v28, v[5:6]
	scratch_load_b32 v28, off, off offset:4 ; 4-byte Folded Reload
	v_cmp_ne_u32_e32 vcc_lo, 0, v10
	v_cvt_f64_f32_e32 v[12:13], v13
	v_bfe_u32 v24, v11, 20, 11
	v_and_b32_e32 v5, 7, v8
	v_and_or_b32 v22, 0x8000, v22, v6
	v_cndmask_b32_e64 v10, 0, 1, vcc_lo
	v_and_b32_e32 v14, 0xffff, v14
	v_sub_nc_u32_e32 v17, 0x3f1, v24
	v_cmp_lt_i32_e32 vcc_lo, 5, v5
	v_cmp_eq_u32_e64 s0, 3, v5
	v_and_or_b32 v10, 0xffe, v23, v10
	v_lshrrev_b32_e32 v5, 2, v8
	v_med3_i32 v17, v17, 0, 13
	v_add_nc_u32_e32 v24, 0xfffffc10, v24
	s_or_b32 vcc_lo, s0, vcc_lo
	v_or_b32_e32 v26, 0x1000, v10
	v_lshl_or_b32 v22, v22, 16, v14
	v_lshlrev_b64 v[14:15], 2, v[15:16]
	v_lshrrev_b32_e32 v11, 16, v11
	s_delay_alu instid0(VALU_DEP_4) | instskip(SKIP_1) | instid1(VALU_DEP_2)
	v_lshrrev_b32_e32 v27, v17, v26
	v_and_or_b32 v3, 0x1ff, v4, v3
	v_lshlrev_b32_e32 v8, v17, v27
	v_lshrrev_b32_e32 v17, 8, v4
	s_waitcnt vmcnt(1)
	v_mul_f16_e32 v23, v29, v25
	s_waitcnt vmcnt(0)
	s_delay_alu instid0(VALU_DEP_1) | instskip(SKIP_1) | instid1(VALU_DEP_2)
	v_fmac_f16_e32 v23, v28, v7
	v_mul_f16_e32 v7, v29, v7
	v_cvt_f32_f16_e32 v6, v23
	v_add_co_ci_u32_e32 v23, vcc_lo, 0, v5, vcc_lo
	v_cmp_ne_u32_e32 vcc_lo, 0, v3
	s_delay_alu instid0(VALU_DEP_4) | instskip(NEXT) | instid1(VALU_DEP_4)
	v_fma_f16 v7, v28, v25, -v7
	v_cvt_f64_f32_e32 v[5:6], v6
	v_bfe_u32 v25, v4, 20, 11
	v_lshrrev_b32_e32 v4, 16, v4
	v_cndmask_b32_e64 v3, 0, 1, vcc_lo
	v_cmp_ne_u32_e32 vcc_lo, v8, v26
	v_cvt_f32_f16_e32 v28, v7
	v_mul_f64 v[7:8], v[12:13], s[10:11]
	s_delay_alu instid0(VALU_DEP_4) | instskip(SKIP_1) | instid1(VALU_DEP_4)
	v_and_or_b32 v3, 0xffe, v17, v3
	v_cndmask_b32_e64 v26, 0, 1, vcc_lo
	v_cvt_f64_f32_e32 v[12:13], v28
	v_cmp_ne_u32_e32 vcc_lo, 0, v18
	v_lshl_or_b32 v28, v24, 12, v10
	v_sub_nc_u32_e32 v17, 0x3f1, v25
	v_or_b32_e32 v26, v27, v26
	v_or_b32_e32 v27, 0x1000, v3
	v_cndmask_b32_e64 v18, 0, 1, vcc_lo
	v_cmp_gt_i32_e32 vcc_lo, 1, v24
	v_med3_i32 v17, v17, 0, 13
	s_delay_alu instid0(VALU_DEP_3) | instskip(SKIP_2) | instid1(VALU_DEP_4)
	v_lshl_or_b32 v18, v18, 9, 0x7c00
	v_cndmask_b32_e32 v26, v28, v26, vcc_lo
	v_cmp_gt_i32_e32 vcc_lo, 31, v21
	v_lshrrev_b32_e32 v29, v17, v27
	s_delay_alu instid0(VALU_DEP_3) | instskip(SKIP_1) | instid1(VALU_DEP_3)
	v_dual_cndmask_b32 v23, 0x7c00, v23 :: v_dual_and_b32 v28, 7, v26
	v_cmp_eq_u32_e32 vcc_lo, 0x40f, v21
	v_lshlrev_b32_e32 v17, v17, v29
	v_add_nc_u32_e32 v21, 0xfffffc10, v25
	s_delay_alu instid0(VALU_DEP_4)
	v_cmp_eq_u32_e64 s0, 3, v28
	v_cndmask_b32_e32 v16, v23, v18, vcc_lo
	v_cmp_lt_i32_e32 vcc_lo, 5, v28
	v_lshrrev_b32_e32 v18, 16, v9
	v_lshrrev_b32_e32 v9, 2, v26
	v_mul_f64 v[5:6], v[5:6], s[10:11]
	v_cmp_ne_u32_e64 s1, v17, v27
	s_or_b32 vcc_lo, s0, vcc_lo
	v_lshl_or_b32 v23, v21, 12, v3
	v_add_co_ci_u32_e32 v9, vcc_lo, 0, v9, vcc_lo
	v_cmp_ne_u32_e32 vcc_lo, 0, v10
	v_cndmask_b32_e64 v17, 0, 1, s1
	v_and_or_b32 v7, 0x1ff, v8, v7
	v_and_or_b32 v16, 0x8000, v18, v16
	v_cndmask_b32_e64 v10, 0, 1, vcc_lo
	v_cmp_gt_i32_e32 vcc_lo, 31, v24
	v_or_b32_e32 v17, v29, v17
	s_delay_alu instid0(VALU_DEP_4) | instskip(NEXT) | instid1(VALU_DEP_4)
	v_and_b32_e32 v16, 0xffff, v16
	v_lshl_or_b32 v26, v10, 9, 0x7c00
	v_cndmask_b32_e32 v25, 0x7c00, v9, vcc_lo
	v_mul_f64 v[9:10], v[12:13], s[10:11]
	v_add_co_u32 v12, vcc_lo, v20, v14
	v_add_co_ci_u32_e32 v13, vcc_lo, v19, v15, vcc_lo
	v_cmp_gt_i32_e32 vcc_lo, 1, v21
	v_lshrrev_b32_e32 v15, 8, v8
	v_cndmask_b32_e32 v14, v23, v17, vcc_lo
	v_cmp_ne_u32_e32 vcc_lo, 0, v7
	v_bfe_u32 v17, v8, 20, 11
	v_lshrrev_b32_e32 v8, 16, v8
	s_delay_alu instid0(VALU_DEP_4) | instskip(SKIP_3) | instid1(VALU_DEP_4)
	v_and_b32_e32 v20, 7, v14
	v_cndmask_b32_e64 v7, 0, 1, vcc_lo
	v_cmp_eq_u32_e32 vcc_lo, 0x40f, v24
	v_lshrrev_b32_e32 v14, 2, v14
	v_cmp_eq_u32_e64 s0, 3, v20
	s_delay_alu instid0(VALU_DEP_4)
	v_and_or_b32 v7, 0xffe, v15, v7
	v_sub_nc_u32_e32 v15, 0x3f1, v17
	v_cndmask_b32_e32 v19, v25, v26, vcc_lo
	v_cmp_lt_i32_e32 vcc_lo, 5, v20
	v_and_or_b32 v5, 0x1ff, v6, v5
	v_or_b32_e32 v18, 0x1000, v7
	v_med3_i32 v15, v15, 0, 13
	v_and_or_b32 v11, 0x8000, v11, v19
	s_or_b32 vcc_lo, s0, vcc_lo
	v_lshrrev_b32_e32 v20, 8, v6
	v_add_co_ci_u32_e32 v14, vcc_lo, 0, v14, vcc_lo
	v_lshrrev_b32_e32 v19, v15, v18
	v_cmp_ne_u32_e32 vcc_lo, 0, v5
	v_bfe_u32 v23, v6, 20, 11
	v_add_nc_u32_e32 v17, 0xfffffc10, v17
	v_lshrrev_b32_e32 v6, 16, v6
	v_lshlrev_b32_e32 v15, v15, v19
	v_cndmask_b32_e64 v5, 0, 1, vcc_lo
	v_cmp_ne_u32_e32 vcc_lo, 0, v3
	v_and_or_b32 v9, 0x1ff, v10, v9
	v_lshrrev_b32_e32 v24, 8, v10
	v_bfe_u32 v25, v10, 20, 11
	v_and_or_b32 v5, 0xffe, v20, v5
	v_cndmask_b32_e64 v3, 0, 1, vcc_lo
	v_cmp_ne_u32_e32 vcc_lo, v15, v18
	v_sub_nc_u32_e32 v20, 0x3f1, v23
	v_lshl_or_b32 v11, v11, 16, v16
	v_or_b32_e32 v18, 0x1000, v5
	v_lshl_or_b32 v3, v3, 9, 0x7c00
	v_cndmask_b32_e64 v15, 0, 1, vcc_lo
	v_cmp_gt_i32_e32 vcc_lo, 31, v21
	v_med3_i32 v20, v20, 0, 13
	s_delay_alu instid0(VALU_DEP_3)
	v_or_b32_e32 v15, v19, v15
	v_cndmask_b32_e32 v14, 0x7c00, v14, vcc_lo
	v_cmp_ne_u32_e32 vcc_lo, 0, v9
	v_lshl_or_b32 v19, v17, 12, v7
	v_lshrrev_b32_e32 v26, v20, v18
	v_cndmask_b32_e64 v9, 0, 1, vcc_lo
	v_cmp_gt_i32_e32 vcc_lo, 1, v17
	s_delay_alu instid0(VALU_DEP_2)
	v_and_or_b32 v9, 0xffe, v24, v9
	v_sub_nc_u32_e32 v24, 0x3f1, v25
	v_cndmask_b32_e32 v15, v19, v15, vcc_lo
	v_lshlrev_b32_e32 v19, v20, v26
	v_cmp_eq_u32_e32 vcc_lo, 0x40f, v21
	v_or_b32_e32 v20, 0x1000, v9
	v_med3_i32 v24, v24, 0, 13
	v_and_b32_e32 v27, 7, v15
	v_lshrrev_b32_e32 v15, 2, v15
	v_cndmask_b32_e32 v3, v14, v3, vcc_lo
	v_cmp_ne_u32_e32 vcc_lo, v19, v18
	v_add_nc_u32_e32 v18, 0xfffffc10, v23
	v_lshrrev_b32_e32 v19, v24, v20
	v_cmp_eq_u32_e64 s0, 3, v27
	v_and_or_b32 v3, 0x8000, v4, v3
	v_cndmask_b32_e64 v14, 0, 1, vcc_lo
	v_lshl_or_b32 v21, v18, 12, v5
	v_lshlrev_b32_e32 v23, v24, v19
	v_cmp_gt_i32_e64 s1, 1, v18
	v_cmp_lt_i32_e32 vcc_lo, 5, v27
	v_or_b32_e32 v14, v26, v14
	s_or_b32 vcc_lo, s0, vcc_lo
	s_delay_alu instid0(VALU_DEP_1) | instskip(SKIP_3) | instid1(VALU_DEP_4)
	v_cndmask_b32_e64 v14, v21, v14, s1
	v_cmp_ne_u32_e64 s1, v23, v20
	v_add_nc_u32_e32 v21, 0xfffffc10, v25
	v_add_co_ci_u32_e32 v15, vcc_lo, 0, v15, vcc_lo
	v_and_b32_e32 v23, 7, v14
	s_delay_alu instid0(VALU_DEP_4)
	v_cndmask_b32_e64 v20, 0, 1, s1
	v_cmp_ne_u32_e32 vcc_lo, 0, v7
	v_cmp_gt_i32_e64 s0, 1, v21
	v_lshrrev_b32_e32 v14, 2, v14
	v_cmp_gt_i32_e64 s1, 31, v17
	v_or_b32_e32 v19, v19, v20
	v_lshl_or_b32 v20, v21, 12, v9
	v_cndmask_b32_e64 v7, 0, 1, vcc_lo
	v_cmp_lt_i32_e32 vcc_lo, 5, v23
	v_cndmask_b32_e64 v15, 0x7c00, v15, s1
	v_cmp_eq_u32_e64 s1, 0x40f, v17
	v_cndmask_b32_e64 v4, v20, v19, s0
	v_cmp_eq_u32_e64 s0, 3, v23
	v_lshl_or_b32 v7, v7, 9, 0x7c00
	s_delay_alu instid0(VALU_DEP_3) | instskip(NEXT) | instid1(VALU_DEP_3)
	v_and_b32_e32 v19, 7, v4
	s_or_b32 vcc_lo, s0, vcc_lo
	v_lshrrev_b32_e32 v4, 2, v4
	v_add_co_ci_u32_e32 v14, vcc_lo, 0, v14, vcc_lo
	v_cmp_ne_u32_e32 vcc_lo, 0, v5
	v_cmp_eq_u32_e64 s0, 3, v19
	v_cndmask_b32_e64 v7, v15, v7, s1
	v_cmp_gt_i32_e64 s1, 31, v18
	v_cndmask_b32_e64 v5, 0, 1, vcc_lo
	v_cmp_lt_i32_e32 vcc_lo, 5, v19
	s_delay_alu instid0(VALU_DEP_4) | instskip(NEXT) | instid1(VALU_DEP_4)
	v_and_or_b32 v7, 0x8000, v8, v7
	v_cndmask_b32_e64 v14, 0x7c00, v14, s1
	v_and_b32_e32 v8, 0xffff, v3
	v_lshl_or_b32 v5, v5, 9, 0x7c00
	s_or_b32 vcc_lo, s0, vcc_lo
	v_add_co_ci_u32_e32 v4, vcc_lo, 0, v4, vcc_lo
	v_cmp_ne_u32_e32 vcc_lo, 0, v9
	v_cndmask_b32_e64 v9, 0, 1, vcc_lo
	v_cmp_eq_u32_e32 vcc_lo, 0x40f, v18
	s_delay_alu instid0(VALU_DEP_2) | instskip(SKIP_2) | instid1(VALU_DEP_2)
	v_lshl_or_b32 v9, v9, 9, 0x7c00
	v_cndmask_b32_e32 v5, v14, v5, vcc_lo
	v_cmp_gt_i32_e32 vcc_lo, 31, v21
	v_and_or_b32 v5, 0x8000, v6, v5
	v_cndmask_b32_e32 v4, 0x7c00, v4, vcc_lo
	v_cmp_eq_u32_e32 vcc_lo, 0x40f, v21
	s_delay_alu instid0(VALU_DEP_2) | instskip(SKIP_4) | instid1(VALU_DEP_4)
	v_cndmask_b32_e32 v6, v4, v9, vcc_lo
	v_lshrrev_b32_e32 v9, 16, v10
	v_add_co_u32 v3, vcc_lo, v0, s15
	v_add_co_ci_u32_e32 v4, vcc_lo, s14, v1, vcc_lo
	v_lshl_or_b32 v10, v7, 16, v8
	v_and_or_b32 v7, 0x8000, v9, v6
	v_and_b32_e32 v8, 0xffff, v5
	v_add_co_u32 v5, vcc_lo, v3, s13
	v_add_co_ci_u32_e32 v6, vcc_lo, s12, v4, vcc_lo
	s_delay_alu instid0(VALU_DEP_3) | instskip(NEXT) | instid1(VALU_DEP_3)
	v_lshl_or_b32 v9, v7, 16, v8
	v_add_co_u32 v7, vcc_lo, v5, s13
	s_delay_alu instid0(VALU_DEP_3)
	v_add_co_ci_u32_e32 v8, vcc_lo, s12, v6, vcc_lo
	global_store_b32 v[0:1], v2, off
	global_store_b32 v[12:13], v22, off
	;; [unrolled: 1-line block ×5, first 2 shown]
.LBB0_2:
	s_nop 0
	s_sendmsg sendmsg(MSG_DEALLOC_VGPRS)
	s_endpgm
	.section	.rodata,"a",@progbits
	.p2align	6, 0x0
	.amdhsa_kernel bluestein_single_back_len2880_dim1_half_op_CI_CI
		.amdhsa_group_segment_fixed_size 11520
		.amdhsa_private_segment_fixed_size 284
		.amdhsa_kernarg_size 104
		.amdhsa_user_sgpr_count 15
		.amdhsa_user_sgpr_dispatch_ptr 0
		.amdhsa_user_sgpr_queue_ptr 0
		.amdhsa_user_sgpr_kernarg_segment_ptr 1
		.amdhsa_user_sgpr_dispatch_id 0
		.amdhsa_user_sgpr_private_segment_size 0
		.amdhsa_wavefront_size32 1
		.amdhsa_uses_dynamic_stack 0
		.amdhsa_enable_private_segment 1
		.amdhsa_system_sgpr_workgroup_id_x 1
		.amdhsa_system_sgpr_workgroup_id_y 0
		.amdhsa_system_sgpr_workgroup_id_z 0
		.amdhsa_system_sgpr_workgroup_info 0
		.amdhsa_system_vgpr_workitem_id 0
		.amdhsa_next_free_vgpr 256
		.amdhsa_next_free_sgpr 20
		.amdhsa_reserve_vcc 1
		.amdhsa_float_round_mode_32 0
		.amdhsa_float_round_mode_16_64 0
		.amdhsa_float_denorm_mode_32 3
		.amdhsa_float_denorm_mode_16_64 3
		.amdhsa_dx10_clamp 1
		.amdhsa_ieee_mode 1
		.amdhsa_fp16_overflow 0
		.amdhsa_workgroup_processor_mode 1
		.amdhsa_memory_ordered 1
		.amdhsa_forward_progress 0
		.amdhsa_shared_vgpr_count 0
		.amdhsa_exception_fp_ieee_invalid_op 0
		.amdhsa_exception_fp_denorm_src 0
		.amdhsa_exception_fp_ieee_div_zero 0
		.amdhsa_exception_fp_ieee_overflow 0
		.amdhsa_exception_fp_ieee_underflow 0
		.amdhsa_exception_fp_ieee_inexact 0
		.amdhsa_exception_int_div_zero 0
	.end_amdhsa_kernel
	.text
.Lfunc_end0:
	.size	bluestein_single_back_len2880_dim1_half_op_CI_CI, .Lfunc_end0-bluestein_single_back_len2880_dim1_half_op_CI_CI
                                        ; -- End function
	.section	.AMDGPU.csdata,"",@progbits
; Kernel info:
; codeLenInByte = 57544
; NumSgprs: 22
; NumVgprs: 256
; ScratchSize: 284
; MemoryBound: 0
; FloatMode: 240
; IeeeMode: 1
; LDSByteSize: 11520 bytes/workgroup (compile time only)
; SGPRBlocks: 2
; VGPRBlocks: 31
; NumSGPRsForWavesPerEU: 22
; NumVGPRsForWavesPerEU: 256
; Occupancy: 5
; WaveLimiterHint : 1
; COMPUTE_PGM_RSRC2:SCRATCH_EN: 1
; COMPUTE_PGM_RSRC2:USER_SGPR: 15
; COMPUTE_PGM_RSRC2:TRAP_HANDLER: 0
; COMPUTE_PGM_RSRC2:TGID_X_EN: 1
; COMPUTE_PGM_RSRC2:TGID_Y_EN: 0
; COMPUTE_PGM_RSRC2:TGID_Z_EN: 0
; COMPUTE_PGM_RSRC2:TIDIG_COMP_CNT: 0
	.text
	.p2alignl 7, 3214868480
	.fill 96, 4, 3214868480
	.type	__hip_cuid_4040592461659bc0,@object ; @__hip_cuid_4040592461659bc0
	.section	.bss,"aw",@nobits
	.globl	__hip_cuid_4040592461659bc0
__hip_cuid_4040592461659bc0:
	.byte	0                               ; 0x0
	.size	__hip_cuid_4040592461659bc0, 1

	.ident	"AMD clang version 19.0.0git (https://github.com/RadeonOpenCompute/llvm-project roc-6.4.0 25133 c7fe45cf4b819c5991fe208aaa96edf142730f1d)"
	.section	".note.GNU-stack","",@progbits
	.addrsig
	.addrsig_sym __hip_cuid_4040592461659bc0
	.amdgpu_metadata
---
amdhsa.kernels:
  - .args:
      - .actual_access:  read_only
        .address_space:  global
        .offset:         0
        .size:           8
        .value_kind:     global_buffer
      - .actual_access:  read_only
        .address_space:  global
        .offset:         8
        .size:           8
        .value_kind:     global_buffer
      - .actual_access:  read_only
        .address_space:  global
        .offset:         16
        .size:           8
        .value_kind:     global_buffer
      - .actual_access:  read_only
        .address_space:  global
        .offset:         24
        .size:           8
        .value_kind:     global_buffer
      - .actual_access:  read_only
        .address_space:  global
        .offset:         32
        .size:           8
        .value_kind:     global_buffer
      - .offset:         40
        .size:           8
        .value_kind:     by_value
      - .address_space:  global
        .offset:         48
        .size:           8
        .value_kind:     global_buffer
      - .address_space:  global
        .offset:         56
        .size:           8
        .value_kind:     global_buffer
      - .address_space:  global
        .offset:         64
        .size:           8
        .value_kind:     global_buffer
      - .address_space:  global
        .offset:         72
        .size:           8
        .value_kind:     global_buffer
      - .offset:         80
        .size:           4
        .value_kind:     by_value
      - .address_space:  global
        .offset:         88
        .size:           8
        .value_kind:     global_buffer
      - .address_space:  global
        .offset:         96
        .size:           8
        .value_kind:     global_buffer
    .group_segment_fixed_size: 11520
    .kernarg_segment_align: 8
    .kernarg_segment_size: 104
    .language:       OpenCL C
    .language_version:
      - 2
      - 0
    .max_flat_workgroup_size: 96
    .name:           bluestein_single_back_len2880_dim1_half_op_CI_CI
    .private_segment_fixed_size: 284
    .sgpr_count:     22
    .sgpr_spill_count: 0
    .symbol:         bluestein_single_back_len2880_dim1_half_op_CI_CI.kd
    .uniform_work_group_size: 1
    .uses_dynamic_stack: false
    .vgpr_count:     256
    .vgpr_spill_count: 70
    .wavefront_size: 32
    .workgroup_processor_mode: 1
amdhsa.target:   amdgcn-amd-amdhsa--gfx1100
amdhsa.version:
  - 1
  - 2
...

	.end_amdgpu_metadata
